;; amdgpu-corpus repo=ROCm/rocFFT kind=compiled arch=gfx950 opt=O3
	.text
	.amdgcn_target "amdgcn-amd-amdhsa--gfx950"
	.amdhsa_code_object_version 6
	.protected	bluestein_single_back_len3125_dim1_sp_op_CI_CI ; -- Begin function bluestein_single_back_len3125_dim1_sp_op_CI_CI
	.globl	bluestein_single_back_len3125_dim1_sp_op_CI_CI
	.p2align	8
	.type	bluestein_single_back_len3125_dim1_sp_op_CI_CI,@function
bluestein_single_back_len3125_dim1_sp_op_CI_CI: ; @bluestein_single_back_len3125_dim1_sp_op_CI_CI
; %bb.0:
	s_load_dwordx4 s[4:7], s[0:1], 0x28
	v_mul_u32_u24_e32 v1, 0x20d, v0
	v_add_u32_sdwa v208, s2, v1 dst_sel:DWORD dst_unused:UNUSED_PAD src0_sel:DWORD src1_sel:WORD_1
	v_mov_b32_e32 v209, 0
	s_waitcnt lgkmcnt(0)
	v_cmp_gt_u64_e32 vcc, s[4:5], v[208:209]
	s_and_saveexec_b64 s[2:3], vcc
	s_cbranch_execz .LBB0_2
; %bb.1:
	s_load_dwordx4 s[12:15], s[0:1], 0x18
	s_load_dwordx4 s[8:11], s[0:1], 0x0
	v_mov_b32_e32 v2, s6
	v_mov_b32_e32 v3, s7
	s_movk_i32 s16, 0x7d
	s_waitcnt lgkmcnt(0)
	s_load_dwordx4 s[4:7], s[14:15], 0x0
	v_mul_lo_u16_sdwa v1, v1, s16 dst_sel:DWORD dst_unused:UNUSED_PAD src0_sel:WORD_1 src1_sel:DWORD
	s_load_dwordx4 s[12:15], s[12:13], 0x0
	v_sub_u16_e32 v204, v0, v1
	v_mov_b32_e32 v251, 0x1388
	s_waitcnt lgkmcnt(0)
	v_mad_u64_u32 v[4:5], s[2:3], s6, v208, 0
	v_mov_b32_e32 v0, v5
	v_mad_u64_u32 v[0:1], s[2:3], s7, v208, v[0:1]
	v_accvgpr_write_b32 a2, v0
	v_mad_u64_u32 v[0:1], s[2:3], s14, v208, 0
	v_accvgpr_write_b32 a0, v4
	v_mov_b32_e32 v4, v1
	v_mad_u64_u32 v[4:5], s[2:3], s15, v208, v[4:5]
	v_mov_b32_e32 v1, v4
	v_mad_u64_u32 v[4:5], s[2:3], s12, v204, 0
	;; [unrolled: 2-line block ×3, first 2 shown]
	v_mov_b32_e32 v5, v6
	v_lshl_add_u64 v[0:1], v[0:1], 3, v[2:3]
	v_lshl_add_u64 v[0:1], v[4:5], 3, v[0:1]
	global_load_dwordx2 v[18:19], v[0:1], off
	v_lshlrev_b32_e32 v208, 3, v204
	v_mad_u64_u32 v[0:1], s[2:3], s12, v251, v[0:1]
	v_lshl_add_u64 v[156:157], s[8:9], 0, v[208:209]
	s_mul_i32 s2, s13, 0x1388
	s_movk_i32 s3, 0x1000
	global_load_dwordx2 v[48:49], v208, s[8:9]
	v_add_u32_e32 v1, s2, v1
	v_add_co_u32_e32 v20, vcc, s3, v156
	v_mad_u64_u32 v[2:3], s[6:7], s12, v251, v[0:1]
	s_nop 0
	v_addc_co_u32_e32 v21, vcc, 0, v157, vcc
	global_load_dwordx2 v[40:41], v[20:21], off offset:904
	s_movk_i32 s6, 0x2000
	v_add_u32_e32 v3, s2, v3
	global_load_dwordx2 v[22:23], v[0:1], off
	global_load_dwordx2 v[6:7], v[2:3], off
	v_add_co_u32_e32 v12, vcc, s6, v156
	v_mad_u64_u32 v[0:1], s[6:7], s12, v251, v[2:3]
	s_nop 0
	v_addc_co_u32_e32 v13, vcc, 0, v157, vcc
	global_load_dwordx2 v[42:43], v[12:13], off offset:1808
	s_movk_i32 s6, 0x3000
	v_add_co_u32_e32 v8, vcc, s6, v156
	v_add_u32_e32 v1, s2, v1
	s_nop 0
	v_addc_co_u32_e32 v9, vcc, 0, v157, vcc
	global_load_dwordx2 v[44:45], v[8:9], off offset:2712
	global_load_dwordx2 v[4:5], v[0:1], off
	v_mad_u64_u32 v[10:11], s[6:7], s12, v251, v[0:1]
	v_add_u32_e32 v11, s2, v11
	s_movk_i32 s6, 0x4000
	v_mov_b32_e32 v14, 0xffffb5c8
	v_add_co_u32_e32 v2, vcc, s6, v156
	v_mad_u64_u32 v[14:15], s[6:7], s12, v14, v[10:11]
	s_nop 0
	v_addc_co_u32_e32 v3, vcc, 0, v157, vcc
	s_mul_i32 s6, s13, 0xffffb5c8
	global_load_dwordx2 v[0:1], v[10:11], off
	global_load_dwordx2 v[34:35], v[2:3], off offset:3616
	s_sub_i32 s6, s6, s12
	v_add_u32_e32 v15, s6, v15
	global_load_dwordx2 v[10:11], v[14:15], off
	global_load_dwordx2 v[36:37], v208, s[8:9] offset:1000
	v_mad_u64_u32 v[16:17], s[14:15], s12, v251, v[14:15]
	v_add_u32_e32 v17, s2, v17
	v_mad_u64_u32 v[24:25], s[14:15], s12, v251, v[16:17]
	global_load_dwordx2 v[32:33], v[20:21], off offset:1904
	global_load_dwordx2 v[14:15], v[16:17], off
	v_add_u32_e32 v25, s2, v25
	global_load_dwordx2 v[30:31], v[12:13], off offset:2808
	global_load_dwordx2 v[16:17], v[24:25], off
	v_mad_u64_u32 v[24:25], s[14:15], s12, v251, v[24:25]
	v_add_u32_e32 v25, s2, v25
	global_load_dwordx2 v[50:51], v208, s[8:9] offset:2000
	global_load_dwordx2 v[46:47], v208, s[8:9] offset:3000
	global_load_dwordx2 v[28:29], v[24:25], off
	global_load_dwordx2 v[214:215], v[8:9], off offset:3712
	s_mov_b32 s7, 0
	v_mov_b32_e32 v205, s7
	s_movk_i32 s7, 0x5000
	v_add_u32_e32 v207, 0x1400, v208
	v_add_u32_e32 v206, 0x400, v208
	s_load_dwordx2 s[0:1], s[0:1], 0x38
	s_waitcnt vmcnt(18)
	v_mul_f32_e32 v26, v19, v49
	v_fmac_f32_e32 v26, v18, v48
	v_mul_f32_e32 v18, v18, v49
	v_fma_f32 v27, v19, v48, -v18
	v_accvgpr_write_b32 a26, v48
	v_accvgpr_write_b32 a27, v49
	global_load_dwordx2 v[60:61], v[20:21], off offset:2904
	global_load_dwordx2 v[48:49], v[20:21], off offset:3904
	s_waitcnt vmcnt(19)
	v_accvgpr_write_b32 a22, v40
	v_accvgpr_write_b32 a23, v41
	s_waitcnt vmcnt(18)
	v_mul_f32_e32 v18, v23, v41
	v_mul_f32_e32 v19, v22, v41
	v_fmac_f32_e32 v18, v22, v40
	v_fma_f32 v19, v23, v40, -v19
	ds_write_b64 v208, v[18:19] offset:5000
	global_load_dwordx2 v[58:59], v[12:13], off offset:3808
	global_load_dwordx2 v[40:41], v[12:13], off offset:808
	v_add_co_u32_e32 v18, vcc, s7, v156
	s_waitcnt vmcnt(18)
	v_mul_f32_e32 v12, v7, v43
	v_fmac_f32_e32 v12, v6, v42
	v_mul_f32_e32 v6, v6, v43
	v_fma_f32 v13, v7, v42, -v6
	v_accvgpr_write_b32 a36, v42
	ds_write_b64 v208, v[12:13] offset:10000
	v_accvgpr_write_b32 a37, v43
	global_load_dwordx2 v[54:55], v[8:9], off offset:712
	global_load_dwordx2 v[42:43], v[8:9], off offset:1712
	v_mad_u64_u32 v[8:9], s[14:15], s12, v251, v[24:25]
	v_add_u32_e32 v9, s2, v9
	v_addc_co_u32_e32 v19, vcc, 0, v157, vcc
	global_load_dwordx2 v[12:13], v[8:9], off
	global_load_dwordx2 v[220:221], v[18:19], off offset:520
	s_waitcnt vmcnt(20)
	v_mul_f32_e32 v6, v5, v45
	v_fmac_f32_e32 v6, v4, v44
	v_mul_f32_e32 v4, v4, v45
	v_fma_f32 v7, v5, v44, -v4
	v_accvgpr_write_b32 a40, v44
	ds_write_b64 v208, v[6:7] offset:15000
	v_accvgpr_write_b32 a41, v45
	global_load_dwordx2 v[216:217], v[2:3], off offset:616
	global_load_dwordx2 v[56:57], v[2:3], off offset:1616
	global_load_dwordx2 v[44:45], v[2:3], off offset:2616
	s_waitcnt vmcnt(21)
	v_mul_f32_e32 v2, v1, v35
	v_fmac_f32_e32 v2, v0, v34
	v_mul_f32_e32 v0, v0, v35
	v_fma_f32 v3, v1, v34, -v0
	s_waitcnt vmcnt(19)
	v_mul_f32_e32 v0, v11, v37
	v_mul_f32_e32 v1, v10, v37
	s_mov_b64 s[14:15], 0x7d
	v_fmac_f32_e32 v0, v10, v36
	v_fma_f32 v1, v11, v36, -v1
	v_mov_b32_e32 v22, 0xffffb5c8
	ds_write_b64 v208, v[2:3] offset:20000
	v_lshl_add_u64 v[100:101], v[204:205], 0, s[14:15]
	ds_write2_b64 v208, v[26:27], v[0:1] offset1:125
	v_mad_u64_u32 v[0:1], s[14:15], s12, v22, v[8:9]
	v_add_u32_e32 v1, s6, v1
	global_load_dwordx2 v[2:3], v[0:1], off
	v_mad_u64_u32 v[0:1], s[14:15], s12, v251, v[0:1]
	v_add_u32_e32 v1, s2, v1
	global_load_dwordx2 v[4:5], v[0:1], off
	;; [unrolled: 3-line block ×5, first 2 shown]
	global_load_dwordx2 v[218:219], v[18:19], off offset:1520
	v_mad_u64_u32 v[0:1], s[14:15], s12, v22, v[0:1]
	v_add_u32_e32 v1, s6, v1
	global_load_dwordx2 v[22:23], v[0:1], off
	v_mad_u64_u32 v[0:1], s[14:15], s12, v251, v[0:1]
	v_add_u32_e32 v1, s2, v1
	global_load_dwordx2 v[24:25], v[0:1], off
	v_mad_u64_u32 v[0:1], s[14:15], s12, v251, v[0:1]
	v_add_u32_e32 v1, s2, v1
	s_waitcnt vmcnt(25)
	v_mul_f32_e32 v6, v15, v33
	v_mul_f32_e32 v7, v14, v33
	global_load_dwordx2 v[26:27], v[0:1], off
	v_mad_u64_u32 v[0:1], s[14:15], s12, v251, v[0:1]
	v_fmac_f32_e32 v6, v14, v32
	v_fma_f32 v7, v15, v32, -v7
	s_waitcnt vmcnt(24)
	v_mul_f32_e32 v14, v17, v31
	v_mul_f32_e32 v15, v16, v31
	v_accvgpr_write_b32 a30, v30
	v_add_u32_e32 v1, s2, v1
	v_accvgpr_write_b32 a39, v35
	v_fmac_f32_e32 v14, v16, v30
	v_fma_f32 v15, v17, v30, -v15
	v_accvgpr_write_b32 a31, v31
	global_load_dwordx2 v[30:31], v[0:1], off
	v_mad_u64_u32 v[0:1], s[14:15], s12, v251, v[0:1]
	v_accvgpr_write_b32 a38, v34
	v_accvgpr_write_b32 a32, v32
	v_mov_b32_e32 v34, 0xffffb5c8
	v_add_u32_e32 v1, s2, v1
	v_accvgpr_write_b32 a33, v33
	global_load_dwordx2 v[32:33], v[0:1], off
	global_load_dwordx2 v[212:213], v[18:19], off offset:2520
	v_mad_u64_u32 v[0:1], s[14:15], s12, v34, v[0:1]
	s_waitcnt vmcnt(23)
	v_mul_f32_e32 v16, v29, v215
	v_mul_f32_e32 v17, v28, v215
	v_add_u32_e32 v1, s6, v1
	v_fmac_f32_e32 v16, v28, v214
	v_fma_f32 v17, v29, v214, -v17
	global_load_dwordx2 v[28:29], v[0:1], off
	global_load_dwordx2 v[210:211], v208, s[8:9] offset:4000
	global_load_dwordx2 v[52:53], v[18:19], off offset:3520
	v_mad_u64_u32 v[0:1], s[6:7], s12, v251, v[0:1]
	v_add_u32_e32 v1, s2, v1
	global_load_dwordx2 v[34:35], v[0:1], off
	v_mad_u64_u32 v[0:1], s[6:7], s12, v251, v[0:1]
	v_accvgpr_write_b32 a34, v36
	v_add_u32_e32 v1, s2, v1
	v_accvgpr_write_b32 a35, v37
	s_waitcnt vmcnt(19)
	v_mul_f32_e32 v18, v13, v221
	global_load_dwordx2 v[36:37], v[0:1], off
	v_mad_u64_u32 v[0:1], s[6:7], s12, v251, v[0:1]
	v_fmac_f32_e32 v18, v12, v220
	v_mul_f32_e32 v12, v12, v221
	v_add_u32_e32 v1, s2, v1
	s_mov_b64 s[6:7], 0xfa
	v_fma_f32 v19, v13, v220, -v12
	global_load_dwordx2 v[12:13], v[0:1], off
	v_lshl_add_u64 v[128:129], v[204:205], 0, s[6:7]
	v_mad_u64_u32 v[0:1], s[6:7], s12, v251, v[0:1]
	v_add_u32_e32 v1, s2, v1
	global_load_dwordx2 v[0:1], v[0:1], off
	s_waitcnt vmcnt(18)
	v_mul_f32_e32 v38, v3, v51
	v_fmac_f32_e32 v38, v2, v50
	v_mul_f32_e32 v2, v2, v51
	v_fma_f32 v39, v3, v50, -v2
	s_waitcnt vmcnt(17)
	v_mul_f32_e32 v2, v5, v61
	v_mul_f32_e32 v3, v4, v61
	v_fmac_f32_e32 v2, v4, v60
	v_fma_f32 v3, v5, v60, -v3
	ds_write2_b64 v207, v[6:7], v[2:3] offset0:110 offset1:235
	s_waitcnt vmcnt(16)
	v_mul_f32_e32 v2, v9, v59
	v_mul_f32_e32 v3, v8, v59
	v_fmac_f32_e32 v2, v8, v58
	v_fma_f32 v3, v9, v58, -v3
	v_add_u32_e32 v4, 0x2800, v208
	ds_write2_b64 v4, v[14:15], v[2:3] offset0:95 offset1:220
	s_waitcnt vmcnt(15)
	v_mul_f32_e32 v2, v11, v217
	v_mul_f32_e32 v3, v10, v217
	v_accvgpr_write_b32 a42, v4
	v_fmac_f32_e32 v2, v10, v216
	v_fma_f32 v3, v11, v216, -v3
	v_add_u32_e32 v4, 0x3c00, v208
	ds_write2_b64 v4, v[16:17], v[2:3] offset0:80 offset1:205
	s_waitcnt vmcnt(13)
	v_mul_f32_e32 v2, v21, v219
	v_mul_f32_e32 v3, v20, v219
	v_mov_b32_e32 v16, v4
	v_fmac_f32_e32 v2, v20, v218
	v_fma_f32 v3, v21, v218, -v3
	v_add_u32_e32 v4, 0x5000, v208
	ds_write2_b64 v4, v[18:19], v[2:3] offset0:65 offset1:190
	s_waitcnt vmcnt(12)
	v_mul_f32_e32 v2, v23, v47
	v_mul_f32_e32 v3, v22, v47
	s_mov_b64 s[6:7], 0x177
	v_fmac_f32_e32 v2, v22, v46
	v_fma_f32 v3, v23, v46, -v3
	v_lshl_add_u64 v[136:137], v[204:205], 0, s[6:7]
	ds_write2_b64 v206, v[38:39], v[2:3] offset0:122 offset1:247
	s_waitcnt vmcnt(11)
	v_mul_f32_e32 v2, v25, v49
	v_mul_f32_e32 v3, v24, v49
	s_mov_b64 s[6:7], 0x1f4
	v_fmac_f32_e32 v2, v24, v48
	v_fma_f32 v3, v25, v48, -v3
	v_lshl_add_u64 v[144:145], v[204:205], 0, s[6:7]
	v_add_u32_e32 v205, 0x1c00, v208
	v_accvgpr_write_b32 a43, v4
	s_waitcnt vmcnt(10)
	v_mul_f32_e32 v4, v27, v55
	v_mul_f32_e32 v5, v26, v55
	v_fmac_f32_e32 v4, v26, v54
	v_fma_f32 v5, v27, v54, -v5
	s_waitcnt vmcnt(9)
	v_mul_f32_e32 v6, v31, v57
	v_mul_f32_e32 v7, v30, v57
	v_fmac_f32_e32 v6, v30, v56
	v_fma_f32 v7, v31, v56, -v7
	s_waitcnt vmcnt(7)
	v_mul_f32_e32 v8, v33, v213
	v_mul_f32_e32 v9, v32, v213
	s_waitcnt vmcnt(5)
	v_mul_f32_e32 v10, v29, v211
	v_mul_f32_e32 v11, v28, v211
	v_fmac_f32_e32 v10, v28, v210
	v_fma_f32 v11, v29, v210, -v11
	ds_write_b64 v208, v[10:11] offset:4000
	s_waitcnt vmcnt(3)
	v_mul_f32_e32 v10, v35, v41
	v_mul_f32_e32 v11, v34, v41
	v_fmac_f32_e32 v10, v34, v40
	v_fma_f32 v11, v35, v40, -v11
	ds_write2_b64 v205, v[2:3], v[10:11] offset0:104 offset1:229
	v_add_u32_e32 v10, 0x3000, v208
	v_fmac_f32_e32 v8, v32, v212
	s_waitcnt vmcnt(2)
	v_mul_f32_e32 v2, v37, v43
	v_mul_f32_e32 v3, v36, v43
	v_fmac_f32_e32 v2, v36, v42
	v_fma_f32 v3, v37, v42, -v3
	ds_write2_b64 v10, v[4:5], v[2:3] offset0:89 offset1:214
	v_add_u32_e32 v4, 0x4400, v208
	v_fma_f32 v9, v33, v212, -v9
	v_accvgpr_write_b32 a16, v48
	s_waitcnt vmcnt(1)
	v_mul_f32_e32 v2, v13, v45
	v_mul_f32_e32 v3, v12, v45
	v_fmac_f32_e32 v2, v12, v44
	v_fma_f32 v3, v13, v44, -v3
	ds_write2_b64 v4, v[6:7], v[2:3] offset0:74 offset1:199
	s_waitcnt vmcnt(0)
	v_mul_f32_e32 v2, v1, v53
	v_fmac_f32_e32 v2, v0, v52
	v_mul_f32_e32 v0, v0, v53
	v_fma_f32 v3, v1, v52, -v0
	v_add_u32_e32 v0, 0x5800, v208
	ds_write2_b64 v0, v[8:9], v[2:3] offset0:59 offset1:184
	v_accvgpr_write_b32 a3, v0
	v_mul_lo_u16_e32 v0, 5, v204
	v_accvgpr_write_b32 a17, v49
	v_mov_b32_e32 v48, v4
	s_waitcnt lgkmcnt(0)
	s_barrier
	v_lshlrev_b32_e32 v68, 3, v0
	ds_read2_b64 v[0:3], v208 offset1:125
	ds_read2_b64 v[4:7], v207 offset0:110 offset1:235
	v_add_u32_e32 v12, 0x2400, v208
	v_accvgpr_write_b32 a1, v10
	ds_read2_b64 v[8:11], v12 offset0:98 offset1:223
	v_mov_b32_e32 v223, v12
	ds_read2_b64 v[12:15], v16 offset0:80 offset1:205
	v_add_u32_e32 v21, 0x4c00, v208
	v_mov_b32_e32 v137, v16
	ds_read2_b64 v[16:19], v21 offset0:68 offset1:193
	v_mul_u32_u24_e32 v20, 5, v100
	v_mov_b32_e32 v222, v21
	v_lshlrev_b32_e32 v64, 3, v20
	s_waitcnt lgkmcnt(3)
	v_pk_add_f32 v[20:21], v[2:3], v[4:5]
	s_waitcnt lgkmcnt(0)
	v_pk_add_f32 v[22:23], v[4:5], v[18:19] neg_lo:[0,1] neg_hi:[0,1]
	v_pk_add_f32 v[20:21], v[20:21], v[10:11]
	s_mov_b32 s6, 0x3f737871
	v_pk_add_f32 v[20:21], v[20:21], v[12:13]
	v_pk_mul_f32 v[24:25], v[22:23], s[6:7] op_sel_hi:[1,0]
	v_pk_add_f32 v[30:31], v[20:21], v[18:19]
	v_pk_add_f32 v[20:21], v[10:11], v[12:13]
	v_pk_add_f32 v[26:27], v[10:11], v[12:13] neg_lo:[0,1] neg_hi:[0,1]
	v_pk_fma_f32 v[20:21], v[20:21], 0.5, v[2:3] op_sel_hi:[1,0,1] neg_lo:[1,0,0] neg_hi:[1,0,0]
	s_mov_b32 s8, 0x3f167918
	v_pk_add_f32 v[32:33], v[4:5], v[10:11] neg_lo:[0,1] neg_hi:[0,1]
	v_pk_add_f32 v[34:35], v[18:19], v[12:13] neg_lo:[0,1] neg_hi:[0,1]
	v_pk_mul_f32 v[28:29], v[26:27], s[8:9] op_sel_hi:[1,0]
	v_pk_add_f32 v[32:33], v[32:33], v[34:35]
	v_pk_add_f32 v[34:35], v[20:21], v[24:25] op_sel:[0,1] op_sel_hi:[1,0]
	v_pk_add_f32 v[20:21], v[20:21], v[24:25] op_sel:[0,1] op_sel_hi:[1,0] neg_lo:[0,1] neg_hi:[0,1]
	v_pk_add_f32 v[24:25], v[34:35], v[28:29] op_sel:[0,1] op_sel_hi:[1,0]
	v_pk_add_f32 v[20:21], v[20:21], v[28:29] op_sel:[0,1] op_sel_hi:[1,0] neg_lo:[0,1] neg_hi:[0,1]
	s_mov_b32 s2, 0x3e9e377a
	v_mov_b32_e32 v28, v24
	v_mov_b32_e32 v29, v21
	v_pk_fma_f32 v[34:35], v[32:33], s[2:3], v[28:29] op_sel_hi:[1,0,1]
	v_pk_add_f32 v[28:29], v[4:5], v[18:19]
	v_pk_add_f32 v[4:5], v[10:11], v[4:5] neg_lo:[0,1] neg_hi:[0,1]
	v_pk_add_f32 v[10:11], v[12:13], v[18:19] neg_lo:[0,1] neg_hi:[0,1]
	v_pk_fma_f32 v[2:3], v[28:29], 0.5, v[2:3] op_sel_hi:[1,0,1] neg_lo:[1,0,0] neg_hi:[1,0,0]
	v_pk_add_f32 v[4:5], v[4:5], v[10:11]
	v_pk_mul_f32 v[10:11], v[26:27], s[6:7] op_sel_hi:[1,0]
	v_pk_mul_f32 v[12:13], v[22:23], s[8:9] op_sel_hi:[1,0]
	v_pk_add_f32 v[18:19], v[2:3], v[10:11] op_sel:[0,1] op_sel_hi:[1,0] neg_lo:[0,1] neg_hi:[0,1]
	v_pk_add_f32 v[2:3], v[2:3], v[10:11] op_sel:[0,1] op_sel_hi:[1,0]
	v_pk_add_f32 v[10:11], v[18:19], v[12:13] op_sel:[0,1] op_sel_hi:[1,0]
	v_pk_add_f32 v[2:3], v[2:3], v[12:13] op_sel:[0,1] op_sel_hi:[1,0] neg_lo:[0,1] neg_hi:[0,1]
	v_mov_b32_e32 v12, v10
	v_mov_b32_e32 v13, v3
	;; [unrolled: 1-line block ×3, first 2 shown]
	v_pk_fma_f32 v[36:37], v[4:5], s[2:3], v[12:13] op_sel_hi:[1,0,1]
	v_pk_fma_f32 v[38:39], v[4:5], s[2:3], v[2:3] op_sel_hi:[1,0,1]
	ds_read2_b64 v[2:5], v206 offset0:122 offset1:247
	v_add_u32_e32 v18, 0x2c00, v208
	ds_read2_b64 v[10:13], v18 offset0:92 offset1:217
	v_mov_b32_e32 v21, v25
	v_add_u32_e32 v23, 0x5400, v208
	v_pk_fma_f32 v[32:33], v[32:33], s[2:3], v[20:21] op_sel_hi:[1,0,1]
	v_mov_b32_e32 v203, v18
	ds_read2_b64 v[18:21], v23 offset0:62 offset1:187
	v_mul_u32_u24_e32 v22, 5, v128
	v_mov_b32_e32 v145, v23
	v_lshlrev_b32_e32 v66, 3, v22
	s_waitcnt lgkmcnt(2)
	v_pk_add_f32 v[22:23], v[2:3], v[6:7]
	v_accvgpr_write_b32 a10, v40
	s_waitcnt lgkmcnt(1)
	v_pk_add_f32 v[22:23], v[22:23], v[10:11]
	v_accvgpr_write_b32 a18, v46
	v_pk_add_f32 v[22:23], v[22:23], v[14:15]
	v_accvgpr_write_b32 a11, v41
	v_accvgpr_write_b32 a6, v44
	s_waitcnt lgkmcnt(0)
	v_pk_add_f32 v[40:41], v[22:23], v[18:19]
	v_pk_add_f32 v[22:23], v[10:11], v[14:15]
	v_pk_add_f32 v[24:25], v[6:7], v[18:19] neg_lo:[0,1] neg_hi:[0,1]
	v_accvgpr_write_b32 a19, v47
	v_accvgpr_write_b32 a8, v42
	;; [unrolled: 1-line block ×3, first 2 shown]
	v_pk_fma_f32 v[22:23], v[22:23], 0.5, v[2:3] op_sel_hi:[1,0,1] neg_lo:[1,0,0] neg_hi:[1,0,0]
	v_pk_mul_f32 v[26:27], v[24:25], s[6:7] op_sel_hi:[1,0]
	v_pk_add_f32 v[28:29], v[10:11], v[14:15] neg_lo:[0,1] neg_hi:[0,1]
	v_pk_add_f32 v[44:45], v[6:7], v[10:11] neg_lo:[0,1] neg_hi:[0,1]
	;; [unrolled: 1-line block ×3, first 2 shown]
	v_accvgpr_write_b32 a9, v43
	v_pk_mul_f32 v[42:43], v[28:29], s[8:9] op_sel_hi:[1,0]
	v_pk_add_f32 v[44:45], v[44:45], v[46:47]
	v_pk_add_f32 v[46:47], v[22:23], v[26:27] op_sel:[0,1] op_sel_hi:[1,0]
	v_pk_add_f32 v[22:23], v[22:23], v[26:27] op_sel:[0,1] op_sel_hi:[1,0] neg_lo:[0,1] neg_hi:[0,1]
	v_accvgpr_write_b32 a14, v54
	v_pk_add_f32 v[26:27], v[22:23], v[42:43] op_sel:[0,1] op_sel_hi:[1,0] neg_lo:[0,1] neg_hi:[0,1]
	v_pk_add_f32 v[22:23], v[46:47], v[42:43] op_sel:[0,1] op_sel_hi:[1,0]
	v_pk_add_f32 v[46:47], v[6:7], v[18:19]
	v_pk_add_f32 v[6:7], v[10:11], v[6:7] neg_lo:[0,1] neg_hi:[0,1]
	v_pk_add_f32 v[10:11], v[14:15], v[18:19] neg_lo:[0,1] neg_hi:[0,1]
	v_mov_b32_e32 v42, v22
	v_mov_b32_e32 v43, v27
	v_pk_fma_f32 v[2:3], v[46:47], 0.5, v[2:3] op_sel_hi:[1,0,1] neg_lo:[1,0,0] neg_hi:[1,0,0]
	v_pk_add_f32 v[6:7], v[6:7], v[10:11]
	v_pk_mul_f32 v[10:11], v[28:29], s[6:7] op_sel_hi:[1,0]
	v_pk_mul_f32 v[14:15], v[24:25], s[8:9] op_sel_hi:[1,0]
	v_mov_b32_e32 v27, v23
	ds_read2_b64 v[22:25], v205 offset0:104 offset1:229
	v_pk_add_f32 v[18:19], v[2:3], v[10:11] op_sel:[0,1] op_sel_hi:[1,0] neg_lo:[0,1] neg_hi:[0,1]
	v_pk_add_f32 v[2:3], v[2:3], v[10:11] op_sel:[0,1] op_sel_hi:[1,0]
	v_pk_add_f32 v[10:11], v[18:19], v[14:15] op_sel:[0,1] op_sel_hi:[1,0]
	v_pk_add_f32 v[2:3], v[2:3], v[14:15] op_sel:[0,1] op_sel_hi:[1,0] neg_lo:[0,1] neg_hi:[0,1]
	v_pk_fma_f32 v[18:19], v[44:45], s[2:3], v[26:27] op_sel_hi:[1,0,1]
	ds_read2_b64 v[26:29], v48 offset0:74 offset1:199
	v_mov_b32_e32 v14, v10
	v_mov_b32_e32 v15, v3
	;; [unrolled: 1-line block ×3, first 2 shown]
	v_pk_fma_f32 v[14:15], v[6:7], s[2:3], v[14:15] op_sel_hi:[1,0,1]
	v_pk_fma_f32 v[6:7], v[6:7], s[2:3], v[2:3] op_sel_hi:[1,0,1]
	v_mul_u32_u24_e32 v2, 5, v136
	v_lshlrev_b32_e32 v67, 3, v2
	s_waitcnt lgkmcnt(1)
	v_pk_add_f32 v[2:3], v[4:5], v[22:23]
	v_accvgpr_write_b32 a4, v52
	v_pk_add_f32 v[2:3], v[2:3], v[12:13]
	v_pk_fma_f32 v[42:43], v[44:45], s[2:3], v[42:43] op_sel_hi:[1,0,1]
	s_waitcnt lgkmcnt(0)
	v_pk_add_f32 v[2:3], v[2:3], v[26:27]
	v_pk_add_f32 v[10:11], v[22:23], v[20:21] neg_lo:[0,1] neg_hi:[0,1]
	v_pk_add_f32 v[44:45], v[2:3], v[20:21]
	v_pk_add_f32 v[2:3], v[12:13], v[26:27]
	v_accvgpr_write_b32 a28, v50
	v_accvgpr_write_b32 a15, v55
	v_accvgpr_write_b32 a5, v53
	v_mov_b32_e32 v202, v48
	v_pk_fma_f32 v[2:3], v[2:3], 0.5, v[4:5] op_sel_hi:[1,0,1] neg_lo:[1,0,0] neg_hi:[1,0,0]
	v_pk_mul_f32 v[46:47], v[10:11], s[6:7] op_sel_hi:[1,0]
	v_pk_add_f32 v[48:49], v[12:13], v[26:27] neg_lo:[0,1] neg_hi:[0,1]
	v_pk_add_f32 v[52:53], v[22:23], v[12:13] neg_lo:[0,1] neg_hi:[0,1]
	v_pk_add_f32 v[54:55], v[20:21], v[26:27] neg_lo:[0,1] neg_hi:[0,1]
	v_accvgpr_write_b32 a29, v51
	v_pk_mul_f32 v[50:51], v[48:49], s[8:9] op_sel_hi:[1,0]
	v_pk_add_f32 v[52:53], v[52:53], v[54:55]
	v_pk_add_f32 v[54:55], v[2:3], v[46:47] op_sel:[0,1] op_sel_hi:[1,0]
	v_pk_add_f32 v[2:3], v[2:3], v[46:47] op_sel:[0,1] op_sel_hi:[1,0] neg_lo:[0,1] neg_hi:[0,1]
	v_pk_add_f32 v[46:47], v[54:55], v[50:51] op_sel:[0,1] op_sel_hi:[1,0]
	v_pk_add_f32 v[54:55], v[22:23], v[20:21]
	v_pk_add_f32 v[12:13], v[12:13], v[22:23] neg_lo:[0,1] neg_hi:[0,1]
	v_pk_add_f32 v[20:21], v[26:27], v[20:21] neg_lo:[0,1] neg_hi:[0,1]
	v_pk_fma_f32 v[4:5], v[54:55], 0.5, v[4:5] op_sel_hi:[1,0,1] neg_lo:[1,0,0] neg_hi:[1,0,0]
	v_pk_add_f32 v[12:13], v[12:13], v[20:21]
	v_pk_mul_f32 v[20:21], v[48:49], s[6:7] op_sel_hi:[1,0]
	v_pk_mul_f32 v[10:11], v[10:11], s[8:9] op_sel_hi:[1,0]
	v_pk_add_f32 v[22:23], v[4:5], v[20:21] op_sel:[0,1] op_sel_hi:[1,0] neg_lo:[0,1] neg_hi:[0,1]
	v_pk_add_f32 v[4:5], v[4:5], v[20:21] op_sel:[0,1] op_sel_hi:[1,0]
	v_pk_add_f32 v[2:3], v[2:3], v[50:51] op_sel:[0,1] op_sel_hi:[1,0] neg_lo:[0,1] neg_hi:[0,1]
	v_pk_add_f32 v[4:5], v[4:5], v[10:11] op_sel:[0,1] op_sel_hi:[1,0] neg_lo:[0,1] neg_hi:[0,1]
	v_pk_add_f32 v[10:11], v[22:23], v[10:11] op_sel:[0,1] op_sel_hi:[1,0]
	v_mov_b32_e32 v51, v3
	v_mov_b32_e32 v20, v10
	;; [unrolled: 1-line block ×5, first 2 shown]
	v_add_u32_e32 v10, 0xc00, v208
	v_add_u32_e32 v47, 0x3400, v208
	v_pk_fma_f32 v[20:21], v[12:13], s[2:3], v[20:21] op_sel_hi:[1,0,1]
	v_pk_fma_f32 v[22:23], v[12:13], s[2:3], v[4:5] op_sel_hi:[1,0,1]
	;; [unrolled: 1-line block ×3, first 2 shown]
	ds_read2_b64 v[2:5], v10 offset0:116 offset1:241
	v_mov_b32_e32 v129, v10
	ds_read2_b64 v[10:13], v47 offset0:86 offset1:211
	v_mov_b32_e32 v50, v46
	v_accvgpr_write_b32 a24, v60
	v_accvgpr_write_b32 a20, v58
	;; [unrolled: 1-line block ×3, first 2 shown]
	v_pk_fma_f32 v[50:51], v[52:53], s[2:3], v[50:51] op_sel_hi:[1,0,1]
	s_waitcnt lgkmcnt(0)
	v_pk_add_f32 v[52:53], v[8:9], v[12:13]
	v_pk_add_f32 v[54:55], v[4:5], v[16:17] neg_lo:[0,1] neg_hi:[0,1]
	v_accvgpr_write_b32 a25, v61
	v_accvgpr_write_b32 a21, v59
	;; [unrolled: 1-line block ×3, first 2 shown]
	v_pk_fma_f32 v[52:53], v[52:53], 0.5, v[0:1] op_sel_hi:[1,0,1] neg_lo:[1,0,0] neg_hi:[1,0,0]
	v_pk_mul_f32 v[56:57], v[54:55], s[6:7] op_sel_hi:[1,0]
	v_pk_add_f32 v[58:59], v[8:9], v[12:13] neg_lo:[0,1] neg_hi:[0,1]
	v_pk_add_f32 v[60:61], v[4:5], v[8:9] neg_lo:[0,1] neg_hi:[0,1]
	v_pk_add_f32 v[62:63], v[16:17], v[12:13] neg_lo:[0,1] neg_hi:[0,1]
	v_pk_add_f32 v[48:49], v[0:1], v[4:5]
	v_pk_add_f32 v[60:61], v[60:61], v[62:63]
	v_pk_add_f32 v[62:63], v[52:53], v[56:57] op_sel:[0,1] op_sel_hi:[1,0]
	v_pk_add_f32 v[52:53], v[52:53], v[56:57] op_sel:[0,1] op_sel_hi:[1,0] neg_lo:[0,1] neg_hi:[0,1]
	v_pk_mul_f32 v[56:57], v[58:59], s[8:9] op_sel_hi:[1,0]
	v_pk_add_f32 v[48:49], v[48:49], v[8:9]
	v_pk_add_f32 v[52:53], v[52:53], v[56:57] op_sel:[0,1] op_sel_hi:[1,0] neg_lo:[0,1] neg_hi:[0,1]
	v_pk_add_f32 v[56:57], v[62:63], v[56:57] op_sel:[0,1] op_sel_hi:[1,0]
	v_pk_add_f32 v[48:49], v[48:49], v[12:13]
	v_mov_b32_e32 v62, v56
	v_mov_b32_e32 v63, v53
	v_mul_u32_u24_e32 v46, 5, v144
	v_pk_add_f32 v[48:49], v[48:49], v[16:17]
	v_pk_fma_f32 v[62:63], v[60:61], s[2:3], v[62:63] op_sel_hi:[1,0,1]
	v_mov_b32_e32 v142, v47
	v_lshlrev_b32_e32 v65, 3, v46
	ds_read_b64 v[46:47], v208 offset:24000
	s_waitcnt lgkmcnt(0)
	s_barrier
	ds_write2_b64 v68, v[48:49], v[62:63] offset1:1
	v_pk_add_f32 v[62:63], v[4:5], v[16:17]
	v_pk_add_f32 v[4:5], v[8:9], v[4:5] neg_lo:[0,1] neg_hi:[0,1]
	v_pk_add_f32 v[8:9], v[12:13], v[16:17] neg_lo:[0,1] neg_hi:[0,1]
	v_pk_fma_f32 v[0:1], v[62:63], 0.5, v[0:1] op_sel_hi:[1,0,1] neg_lo:[1,0,0] neg_hi:[1,0,0]
	v_pk_add_f32 v[4:5], v[4:5], v[8:9]
	v_pk_mul_f32 v[8:9], v[58:59], s[6:7] op_sel_hi:[1,0]
	v_pk_mul_f32 v[12:13], v[54:55], s[8:9] op_sel_hi:[1,0]
	v_pk_add_f32 v[16:17], v[0:1], v[8:9] op_sel:[0,1] op_sel_hi:[1,0] neg_lo:[0,1] neg_hi:[0,1]
	v_pk_add_f32 v[0:1], v[0:1], v[8:9] op_sel:[0,1] op_sel_hi:[1,0]
	v_pk_add_f32 v[8:9], v[16:17], v[12:13] op_sel:[0,1] op_sel_hi:[1,0]
	v_pk_add_f32 v[0:1], v[0:1], v[12:13] op_sel:[0,1] op_sel_hi:[1,0] neg_lo:[0,1] neg_hi:[0,1]
	v_mov_b32_e32 v12, v8
	v_mov_b32_e32 v13, v1
	v_mov_b32_e32 v1, v9
	v_pk_fma_f32 v[12:13], v[4:5], s[2:3], v[12:13] op_sel_hi:[1,0,1]
	v_pk_fma_f32 v[0:1], v[4:5], s[2:3], v[0:1] op_sel_hi:[1,0,1]
	v_mov_b32_e32 v53, v57
	ds_write2_b64 v68, v[12:13], v[0:1] offset0:2 offset1:3
	v_pk_fma_f32 v[0:1], v[60:61], s[2:3], v[52:53] op_sel_hi:[1,0,1]
	ds_write_b64 v68, v[0:1] offset:32
	v_pk_add_f32 v[0:1], v[10:11], v[28:29]
	v_pk_add_f32 v[4:5], v[24:25], v[46:47] neg_lo:[0,1] neg_hi:[0,1]
	ds_write2_b64 v64, v[30:31], v[34:35] offset1:1
	ds_write2_b64 v64, v[36:37], v[38:39] offset0:2 offset1:3
	ds_write_b64 v64, v[32:33] offset:32
	ds_write2_b64 v66, v[40:41], v[42:43] offset1:1
	ds_write2_b64 v66, v[14:15], v[6:7] offset0:2 offset1:3
	ds_write_b64 v66, v[18:19] offset:32
	v_pk_fma_f32 v[0:1], v[0:1], 0.5, v[2:3] op_sel_hi:[1,0,1] neg_lo:[1,0,0] neg_hi:[1,0,0]
	v_pk_mul_f32 v[6:7], v[4:5], s[6:7] op_sel_hi:[1,0]
	v_pk_add_f32 v[8:9], v[10:11], v[28:29] neg_lo:[0,1] neg_hi:[0,1]
	v_pk_add_f32 v[14:15], v[24:25], v[10:11] neg_lo:[0,1] neg_hi:[0,1]
	v_pk_add_f32 v[16:17], v[46:47], v[28:29] neg_lo:[0,1] neg_hi:[0,1]
	v_pk_add_f32 v[48:49], v[2:3], v[24:25]
	v_pk_mul_f32 v[12:13], v[8:9], s[8:9] op_sel_hi:[1,0]
	v_pk_add_f32 v[14:15], v[14:15], v[16:17]
	v_pk_add_f32 v[16:17], v[0:1], v[6:7] op_sel:[0,1] op_sel_hi:[1,0]
	v_pk_add_f32 v[0:1], v[0:1], v[6:7] op_sel:[0,1] op_sel_hi:[1,0] neg_lo:[0,1] neg_hi:[0,1]
	v_pk_add_f32 v[48:49], v[48:49], v[10:11]
	v_pk_add_f32 v[0:1], v[0:1], v[12:13] op_sel:[0,1] op_sel_hi:[1,0] neg_lo:[0,1] neg_hi:[0,1]
	v_pk_add_f32 v[6:7], v[16:17], v[12:13] op_sel:[0,1] op_sel_hi:[1,0]
	v_pk_add_f32 v[48:49], v[48:49], v[28:29]
	v_mov_b32_e32 v12, v6
	v_mov_b32_e32 v13, v1
	v_pk_add_f32 v[48:49], v[48:49], v[46:47]
	v_pk_fma_f32 v[12:13], v[14:15], s[2:3], v[12:13] op_sel_hi:[1,0,1]
	ds_write2_b64 v67, v[44:45], v[50:51] offset1:1
	ds_write2_b64 v67, v[20:21], v[22:23] offset0:2 offset1:3
	ds_write_b64 v67, v[26:27] offset:32
	ds_write2_b64 v65, v[48:49], v[12:13] offset1:1
	v_pk_add_f32 v[12:13], v[24:25], v[46:47]
	v_pk_add_f32 v[10:11], v[10:11], v[24:25] neg_lo:[0,1] neg_hi:[0,1]
	v_pk_fma_f32 v[2:3], v[12:13], 0.5, v[2:3] op_sel_hi:[1,0,1] neg_lo:[1,0,0] neg_hi:[1,0,0]
	v_pk_add_f32 v[12:13], v[28:29], v[46:47] neg_lo:[0,1] neg_hi:[0,1]
	v_pk_mul_f32 v[8:9], v[8:9], s[6:7] op_sel_hi:[1,0]
	v_mov_b32_e32 v1, v7
	v_pk_add_f32 v[10:11], v[10:11], v[12:13]
	v_pk_mul_f32 v[4:5], v[4:5], s[8:9] op_sel_hi:[1,0]
	v_pk_add_f32 v[12:13], v[2:3], v[8:9] op_sel:[0,1] op_sel_hi:[1,0] neg_lo:[0,1] neg_hi:[0,1]
	v_pk_add_f32 v[2:3], v[2:3], v[8:9] op_sel:[0,1] op_sel_hi:[1,0]
	v_pk_fma_f32 v[0:1], v[14:15], s[2:3], v[0:1] op_sel_hi:[1,0,1]
	s_mov_b32 s7, 0xcccd
	v_pk_add_f32 v[2:3], v[2:3], v[4:5] op_sel:[0,1] op_sel_hi:[1,0] neg_lo:[0,1] neg_hi:[0,1]
	v_pk_add_f32 v[4:5], v[12:13], v[4:5] op_sel:[0,1] op_sel_hi:[1,0]
	ds_write_b64 v65, v[0:1] offset:32
	v_mul_u32_u24_sdwa v0, v144, s7 dst_sel:DWORD dst_unused:UNUSED_PAD src0_sel:WORD_0 src1_sel:DWORD
	v_mov_b32_e32 v8, v4
	v_lshrrev_b32_e32 v4, 18, v0
	v_mul_lo_u16_e32 v0, 5, v4
	v_mov_b32_e32 v9, v3
	v_mov_b32_e32 v3, v5
	v_sub_u16_e32 v5, v144, v0
	v_lshlrev_b16_e32 v0, 2, v5
	v_pk_fma_f32 v[8:9], v[10:11], s[2:3], v[8:9] op_sel_hi:[1,0,1]
	v_pk_fma_f32 v[2:3], v[10:11], s[2:3], v[2:3] op_sel_hi:[1,0,1]
	v_lshlrev_b32_e32 v0, 3, v0
	ds_write2_b64 v65, v[8:9], v[2:3] offset0:2 offset1:3
	s_waitcnt lgkmcnt(0)
	s_barrier
	global_load_dwordx4 v[198:201], v0, s[10:11]
	global_load_dwordx4 v[178:181], v0, s[10:11] offset:16
	v_mul_u32_u24_sdwa v0, v136, s7 dst_sel:DWORD dst_unused:UNUSED_PAD src0_sel:WORD_0 src1_sel:DWORD
	v_lshrrev_b32_e32 v6, 18, v0
	v_mul_lo_u16_e32 v0, 5, v6
	v_sub_u16_e32 v7, v136, v0
	v_lshlrev_b16_e32 v0, 2, v7
	v_lshlrev_b32_e32 v0, 3, v0
	global_load_dwordx4 v[194:197], v0, s[10:11]
	global_load_dwordx4 v[182:185], v0, s[10:11] offset:16
	v_mul_u32_u24_sdwa v0, v128, s7 dst_sel:DWORD dst_unused:UNUSED_PAD src0_sel:WORD_0 src1_sel:DWORD
	v_lshrrev_b32_e32 v84, 18, v0
	v_mul_lo_u16_e32 v0, 5, v84
	v_sub_u16_e32 v85, v128, v0
	v_lshlrev_b16_e32 v0, 2, v85
	v_lshlrev_b32_e32 v0, 3, v0
	s_movk_i32 s7, 0xcd
	global_load_dwordx4 v[190:193], v0, s[10:11]
	global_load_dwordx4 v[186:189], v0, s[10:11] offset:16
	v_mul_lo_u16_sdwa v0, v100, s7 dst_sel:DWORD dst_unused:UNUSED_PAD src0_sel:BYTE_0 src1_sel:DWORD
	v_lshrrev_b16_e32 v16, 10, v0
	v_mul_lo_u16_e32 v0, 5, v16
	v_sub_u16_e32 v0, v100, v0
	v_and_b32_e32 v17, 0xff, v0
	v_lshlrev_b32_e32 v0, 5, v17
	global_load_dwordx4 v[174:177], v0, s[10:11]
	global_load_dwordx4 v[166:169], v0, s[10:11] offset:16
	v_mul_lo_u16_sdwa v0, v204, s7 dst_sel:DWORD dst_unused:UNUSED_PAD src0_sel:BYTE_0 src1_sel:DWORD
	v_lshrrev_b16_e32 v18, 10, v0
	v_mul_lo_u16_e32 v0, 5, v18
	v_sub_u16_e32 v0, v204, v0
	v_and_b32_e32 v19, 0xff, v0
	v_lshlrev_b32_e32 v0, 5, v19
	global_load_dwordx4 v[170:173], v0, s[10:11]
	global_load_dwordx4 v[36:39], v0, s[10:11] offset:16
	ds_read2_b64 v[0:3], v205 offset0:104 offset1:229
	ds_read2_b64 v[40:43], v202 offset0:74 offset1:199
	;; [unrolled: 1-line block ×4, first 2 shown]
	v_accvgpr_write_b32 a47, v64
	v_accvgpr_write_b32 a44, v65
	ds_read2_b64 v[86:89], v137 offset0:80 offset1:205
	v_accvgpr_write_b32 a46, v66
	v_accvgpr_write_b32 a45, v67
	;; [unrolled: 1-line block ×3, first 2 shown]
	ds_read2_b64 v[90:93], v222 offset0:68 offset1:193
	v_mov_b32_e32 v24, v223
	s_mov_b64 s[12:13], 0x1360
	s_waitcnt vmcnt(9) lgkmcnt(5)
	v_pk_mul_f32 v[8:9], v[2:3], v[198:199] op_sel:[0,1]
	s_nop 0
	v_pk_fma_f32 v[44:45], v[2:3], v[198:199], v[8:9] op_sel:[0,0,1] op_sel_hi:[1,1,0] neg_lo:[0,0,1] neg_hi:[0,0,1]
	v_pk_fma_f32 v[48:49], v[2:3], v[198:199], v[8:9] op_sel:[0,0,1] op_sel_hi:[1,0,0]
	s_waitcnt vmcnt(8) lgkmcnt(4)
	v_pk_mul_f32 v[2:3], v[42:43], v[178:179] op_sel:[0,1]
	v_mov_b32_e32 v45, v49
	v_pk_fma_f32 v[46:47], v[42:43], v[178:179], v[2:3] op_sel:[0,0,1] op_sel_hi:[1,1,0] neg_lo:[0,0,1] neg_hi:[0,0,1]
	v_pk_fma_f32 v[50:51], v[42:43], v[178:179], v[2:3] op_sel:[0,0,1] op_sel_hi:[1,0,0]
	s_waitcnt vmcnt(7)
	v_pk_mul_f32 v[2:3], v[0:1], v[194:195] op_sel:[0,1]
	v_mov_b32_e32 v47, v51
	v_pk_fma_f32 v[54:55], v[0:1], v[194:195], v[2:3] op_sel:[0,0,1] op_sel_hi:[1,1,0] neg_lo:[0,0,1] neg_hi:[0,0,1]
	v_pk_fma_f32 v[2:3], v[0:1], v[194:195], v[2:3] op_sel:[0,0,1] op_sel_hi:[1,0,0]
	v_accvgpr_write_b32 a92, v181
	v_mov_b32_e32 v2, v197
	s_waitcnt lgkmcnt(3)
	v_pk_mul_f32 v[0:1], v[72:73], v[2:3] op_sel_hi:[1,0]
	s_waitcnt vmcnt(6)
	v_mov_b32_e32 v2, v185
	v_pk_fma_f32 v[56:57], v[72:73], v[196:197], v[0:1] op_sel:[0,0,1] op_sel_hi:[1,1,0] neg_lo:[0,0,1] neg_hi:[0,0,1]
	v_pk_fma_f32 v[62:63], v[72:73], v[196:197], v[0:1] op_sel:[0,0,1] op_sel_hi:[1,0,0]
	v_pk_mul_f32 v[0:1], v[40:41], v[182:183] op_sel:[0,1]
	v_mov_b32_e32 v57, v63
	v_pk_fma_f32 v[58:59], v[40:41], v[182:183], v[0:1] op_sel:[0,0,1] op_sel_hi:[1,1,0] neg_lo:[0,0,1] neg_hi:[0,0,1]
	v_pk_fma_f32 v[64:65], v[40:41], v[182:183], v[0:1] op_sel:[0,0,1] op_sel_hi:[1,0,0]
	ds_read2_b64 v[40:43], v207 offset0:110 offset1:235
	s_waitcnt lgkmcnt(3)
	v_pk_mul_f32 v[0:1], v[76:77], v[2:3] op_sel_hi:[1,0]
	s_waitcnt vmcnt(5)
	v_mov_b32_e32 v2, v193
	v_pk_fma_f32 v[60:61], v[76:77], v[184:185], v[0:1] op_sel:[0,0,1] op_sel_hi:[1,1,0] neg_lo:[0,0,1] neg_hi:[0,0,1]
	v_pk_fma_f32 v[66:67], v[76:77], v[184:185], v[0:1] op_sel:[0,0,1] op_sel_hi:[1,0,0]
	v_pk_mul_f32 v[0:1], v[70:71], v[2:3] op_sel_hi:[1,0]
	s_waitcnt vmcnt(4)
	v_mov_b32_e32 v2, v189
	v_pk_fma_f32 v[68:69], v[70:71], v[192:193], v[0:1] op_sel:[0,0,1] op_sel_hi:[1,1,0] neg_lo:[0,0,1] neg_hi:[0,0,1]
	v_pk_fma_f32 v[76:77], v[70:71], v[192:193], v[0:1] op_sel:[0,0,1] op_sel_hi:[1,0,0]
	;; [unrolled: 5-line block ×3, first 2 shown]
	s_waitcnt lgkmcnt(0)
	v_pk_mul_f32 v[0:1], v[42:43], v[190:191] op_sel:[0,1]
	s_waitcnt vmcnt(0)
	v_accvgpr_write_b32 a64, v39
	v_pk_fma_f32 v[72:73], v[42:43], v[190:191], v[0:1] op_sel:[0,0,1] op_sel_hi:[1,1,0] neg_lo:[0,0,1] neg_hi:[0,0,1]
	v_pk_fma_f32 v[80:81], v[42:43], v[190:191], v[0:1] op_sel:[0,0,1] op_sel_hi:[1,0,0]
	v_pk_mul_f32 v[0:1], v[40:41], v[174:175] op_sel:[0,1]
	v_mov_b32_e32 v73, v81
	v_pk_fma_f32 v[8:9], v[40:41], v[174:175], v[0:1] op_sel:[0,0,1] op_sel_hi:[1,1,0] neg_lo:[0,0,1] neg_hi:[0,0,1]
	v_pk_fma_f32 v[10:11], v[40:41], v[174:175], v[0:1] op_sel:[0,0,1] op_sel_hi:[1,0,0]
	v_pk_mul_f32 v[0:1], v[88:89], v[186:187] op_sel:[0,1]
	ds_read2_b64 v[40:43], v223 offset0:98 offset1:223
	v_pk_fma_f32 v[74:75], v[88:89], v[186:187], v[0:1] op_sel:[0,0,1] op_sel_hi:[1,1,0] neg_lo:[0,0,1] neg_hi:[0,0,1]
	v_pk_fma_f32 v[82:83], v[88:89], v[186:187], v[0:1] op_sel:[0,0,1] op_sel_hi:[1,0,0]
	v_pk_mul_f32 v[0:1], v[86:87], v[166:167] op_sel:[0,1]
	v_mov_b32_e32 v9, v11
	v_pk_fma_f32 v[12:13], v[86:87], v[166:167], v[0:1] op_sel:[0,0,1] op_sel_hi:[1,1,0] neg_lo:[0,0,1] neg_hi:[0,0,1]
	v_pk_fma_f32 v[14:15], v[86:87], v[166:167], v[0:1] op_sel:[0,0,1] op_sel_hi:[1,0,0]
	ds_read2_b64 v[86:89], v142 offset0:86 offset1:211
	s_waitcnt lgkmcnt(1)
	v_pk_mul_f32 v[0:1], v[42:43], v[2:3] op_sel_hi:[1,0]
	v_mov_b32_e32 v2, v173
	v_pk_fma_f32 v[94:95], v[42:43], v[176:177], v[0:1] op_sel:[0,0,1] op_sel_hi:[1,1,0] neg_lo:[0,0,1] neg_hi:[0,0,1]
	v_pk_fma_f32 v[96:97], v[42:43], v[176:177], v[0:1] op_sel:[0,0,1] op_sel_hi:[1,0,0]
	v_pk_mul_f32 v[0:1], v[40:41], v[2:3] op_sel_hi:[1,0]
	v_mov_b32_e32 v2, v201
	v_pk_fma_f32 v[98:99], v[40:41], v[172:173], v[0:1] op_sel:[0,0,1] op_sel_hi:[1,1,0] neg_lo:[0,0,1] neg_hi:[0,0,1]
	v_pk_fma_f32 v[102:103], v[40:41], v[172:173], v[0:1] op_sel:[0,0,1] op_sel_hi:[1,0,0]
	s_waitcnt lgkmcnt(0)
	v_pk_mul_f32 v[0:1], v[86:87], v[2:3] op_sel_hi:[1,0]
	v_pk_mul_f32 v[40:41], v[88:89], v[36:37] op_sel:[0,1]
	v_pk_fma_f32 v[52:53], v[86:87], v[200:201], v[0:1] op_sel:[0,0,1] op_sel_hi:[1,1,0] neg_lo:[0,0,1] neg_hi:[0,0,1]
	v_pk_fma_f32 v[0:1], v[86:87], v[200:201], v[0:1] op_sel:[0,0,1] op_sel_hi:[1,0,0]
	v_pk_fma_f32 v[104:105], v[88:89], v[36:37], v[40:41] op_sel:[0,0,1] op_sel_hi:[1,1,0] neg_lo:[0,0,1] neg_hi:[0,0,1]
	v_mov_b32_e32 v0, v169
	v_pk_fma_f32 v[86:87], v[88:89], v[36:37], v[40:41] op_sel:[0,0,1] op_sel_hi:[1,0,0]
	v_pk_mul_f32 v[40:41], v[92:93], v[0:1] op_sel_hi:[1,0]
	v_mov_b32_e32 v0, v39
	v_pk_fma_f32 v[106:107], v[92:93], v[168:169], v[40:41] op_sel:[0,0,1] op_sel_hi:[1,1,0] neg_lo:[0,0,1] neg_hi:[0,0,1]
	v_pk_fma_f32 v[108:109], v[92:93], v[168:169], v[40:41] op_sel:[0,0,1] op_sel_hi:[1,0,0]
	ds_read2_b64 v[40:43], v129 offset0:116 offset1:241
	v_pk_mul_f32 v[88:89], v[90:91], v[0:1] op_sel_hi:[1,0]
	v_mov_b32_e32 v105, v87
	v_pk_fma_f32 v[110:111], v[90:91], v[38:39], v[88:89] op_sel:[0,0,1] op_sel_hi:[1,1,0] neg_lo:[0,0,1] neg_hi:[0,0,1]
	v_pk_fma_f32 v[88:89], v[90:91], v[38:39], v[88:89] op_sel:[0,0,1] op_sel_hi:[1,0,0]
	s_waitcnt lgkmcnt(0)
	v_pk_mul_f32 v[90:91], v[42:43], v[170:171] op_sel:[0,1]
	v_mov_b32_e32 v111, v89
	ds_read2_b64 v[86:89], v208 offset1:125
	v_pk_fma_f32 v[112:113], v[42:43], v[170:171], v[90:91] op_sel:[0,0,1] op_sel_hi:[1,1,0] neg_lo:[0,0,1] neg_hi:[0,0,1]
	v_pk_fma_f32 v[42:43], v[42:43], v[170:171], v[90:91] op_sel:[0,0,1] op_sel_hi:[1,0,0]
	v_mov_b32_e32 v99, v103
	v_mov_b32_e32 v113, v43
	v_pk_add_f32 v[42:43], v[112:113], v[98:99] neg_lo:[0,1] neg_hi:[0,1]
	v_pk_add_f32 v[90:91], v[110:111], v[104:105] neg_lo:[0,1] neg_hi:[0,1]
	;; [unrolled: 1-line block ×3, first 2 shown]
	v_pk_add_f32 v[42:43], v[42:43], v[90:91]
	v_pk_add_f32 v[90:91], v[98:99], v[104:105]
	v_pk_mul_f32 v[92:93], v[102:103], s[6:7] op_sel_hi:[1,0]
	s_waitcnt lgkmcnt(0)
	v_pk_fma_f32 v[90:91], v[90:91], 0.5, v[86:87] op_sel_hi:[1,0,1] neg_lo:[1,0,0] neg_hi:[1,0,0]
	v_pk_add_f32 v[116:117], v[98:99], v[104:105] neg_lo:[0,1] neg_hi:[0,1]
	v_pk_add_f32 v[114:115], v[90:91], v[92:93] op_sel:[0,1] op_sel_hi:[1,0]
	v_pk_add_f32 v[90:91], v[90:91], v[92:93] op_sel:[0,1] op_sel_hi:[1,0] neg_lo:[0,1] neg_hi:[0,1]
	v_pk_mul_f32 v[92:93], v[116:117], s[8:9] op_sel_hi:[1,0]
	v_mul_u32_u24_e32 v0, 25, v18
	v_pk_add_f32 v[118:119], v[90:91], v[92:93] op_sel:[0,1] op_sel_hi:[1,0] neg_lo:[0,1] neg_hi:[0,1]
	v_pk_add_f32 v[90:91], v[86:87], v[112:113]
	v_pk_add_f32 v[114:115], v[114:115], v[92:93] op_sel:[0,1] op_sel_hi:[1,0]
	v_pk_add_f32 v[90:91], v[90:91], v[98:99]
	v_pk_add_f32 v[98:99], v[98:99], v[112:113] neg_lo:[0,1] neg_hi:[0,1]
	v_pk_add_f32 v[90:91], v[90:91], v[104:105]
	v_pk_add_f32 v[112:113], v[112:113], v[110:111]
	v_pk_add_f32 v[104:105], v[104:105], v[110:111] neg_lo:[0,1] neg_hi:[0,1]
	v_pk_fma_f32 v[86:87], v[112:113], 0.5, v[86:87] op_sel_hi:[1,0,1] neg_lo:[1,0,0] neg_hi:[1,0,0]
	v_pk_add_f32 v[98:99], v[98:99], v[104:105]
	v_pk_mul_f32 v[104:105], v[116:117], s[6:7] op_sel_hi:[1,0]
	v_pk_add_f32 v[120:121], v[90:91], v[110:111]
	v_mov_b32_e32 v125, v119
	v_pk_add_f32 v[110:111], v[86:87], v[104:105] op_sel:[0,1] op_sel_hi:[1,0] neg_lo:[0,1] neg_hi:[0,1]
	v_pk_add_f32 v[86:87], v[86:87], v[104:105] op_sel:[0,1] op_sel_hi:[1,0]
	v_pk_mul_f32 v[102:103], v[102:103], s[8:9] op_sel_hi:[1,0]
	v_mov_b32_e32 v119, v115
	v_add_lshl_u32 v0, v0, v19, 3
	v_pk_add_f32 v[86:87], v[86:87], v[102:103] op_sel:[0,1] op_sel_hi:[1,0] neg_lo:[0,1] neg_hi:[0,1]
	v_pk_add_f32 v[102:103], v[110:111], v[102:103] op_sel:[0,1] op_sel_hi:[1,0]
	v_mov_b32_e32 v95, v97
	v_mov_b32_e32 v13, v15
	;; [unrolled: 1-line block ×3, first 2 shown]
	v_pk_fma_f32 v[10:11], v[42:43], s[2:3], v[118:119] op_sel_hi:[1,0,1]
	ds_read_b64 v[122:123], v208 offset:24000
	ds_read2_b64 v[90:93], v206 offset0:122 offset1:247
	s_waitcnt lgkmcnt(0)
	s_barrier
	v_mov_b32_e32 v124, v114
	v_mov_b32_e32 v104, v102
	;; [unrolled: 1-line block ×4, first 2 shown]
	ds_write_b64 v0, v[10:11] offset:160
	v_pk_add_f32 v[10:11], v[8:9], v[94:95] neg_lo:[0,1] neg_hi:[0,1]
	v_pk_add_f32 v[14:15], v[106:107], v[12:13] neg_lo:[0,1] neg_hi:[0,1]
	v_pk_fma_f32 v[124:125], v[42:43], s[2:3], v[124:125] op_sel_hi:[1,0,1]
	v_pk_fma_f32 v[102:103], v[98:99], s[2:3], v[104:105] op_sel_hi:[1,0,1]
	;; [unrolled: 1-line block ×3, first 2 shown]
	v_pk_add_f32 v[10:11], v[10:11], v[14:15]
	v_pk_add_f32 v[14:15], v[94:95], v[12:13]
	v_pk_add_f32 v[42:43], v[8:9], v[106:107] neg_lo:[0,1] neg_hi:[0,1]
	ds_write2_b64 v0, v[102:103], v[86:87] offset0:10 offset1:15
	v_pk_fma_f32 v[14:15], v[14:15], 0.5, v[88:89] op_sel_hi:[1,0,1] neg_lo:[1,0,0] neg_hi:[1,0,0]
	v_pk_mul_f32 v[86:87], v[42:43], s[6:7] op_sel_hi:[1,0]
	ds_write2_b64 v0, v[120:121], v[124:125] offset1:5
	v_pk_add_f32 v[96:97], v[14:15], v[86:87] op_sel:[0,1] op_sel_hi:[1,0]
	v_pk_add_f32 v[14:15], v[14:15], v[86:87] op_sel:[0,1] op_sel_hi:[1,0] neg_lo:[0,1] neg_hi:[0,1]
	v_pk_add_f32 v[86:87], v[94:95], v[12:13] neg_lo:[0,1] neg_hi:[0,1]
	v_accvgpr_write_b32 a49, v0
	v_pk_mul_f32 v[98:99], v[86:87], s[8:9] op_sel_hi:[1,0]
	v_mul_u32_u24_e32 v0, 25, v16
	v_pk_add_f32 v[14:15], v[14:15], v[98:99] op_sel:[0,1] op_sel_hi:[1,0] neg_lo:[0,1] neg_hi:[0,1]
	v_pk_add_f32 v[96:97], v[96:97], v[98:99] op_sel:[0,1] op_sel_hi:[1,0]
	v_pk_add_f32 v[98:99], v[88:89], v[8:9]
	v_mov_b32_e32 v102, v96
	v_pk_add_f32 v[98:99], v[98:99], v[94:95]
	v_mov_b32_e32 v103, v15
	v_pk_add_f32 v[98:99], v[98:99], v[12:13]
	v_add_lshl_u32 v39, v0, v17, 3
	v_pk_add_f32 v[98:99], v[98:99], v[106:107]
	v_pk_fma_f32 v[102:103], v[10:11], s[2:3], v[102:103] op_sel_hi:[1,0,1]
	ds_write2_b64 v39, v[98:99], v[102:103] offset1:5
	v_pk_add_f32 v[98:99], v[8:9], v[106:107]
	v_pk_add_f32 v[8:9], v[94:95], v[8:9] neg_lo:[0,1] neg_hi:[0,1]
	v_pk_add_f32 v[12:13], v[12:13], v[106:107] neg_lo:[0,1] neg_hi:[0,1]
	v_pk_fma_f32 v[88:89], v[98:99], 0.5, v[88:89] op_sel_hi:[1,0,1] neg_lo:[1,0,0] neg_hi:[1,0,0]
	v_pk_add_f32 v[8:9], v[8:9], v[12:13]
	v_pk_mul_f32 v[12:13], v[86:87], s[6:7] op_sel_hi:[1,0]
	v_pk_mul_f32 v[42:43], v[42:43], s[8:9] op_sel_hi:[1,0]
	v_pk_add_f32 v[86:87], v[88:89], v[12:13] op_sel:[0,1] op_sel_hi:[1,0] neg_lo:[0,1] neg_hi:[0,1]
	v_pk_add_f32 v[12:13], v[88:89], v[12:13] op_sel:[0,1] op_sel_hi:[1,0]
	v_mov_b32_e32 v15, v97
	v_pk_add_f32 v[12:13], v[12:13], v[42:43] op_sel:[0,1] op_sel_hi:[1,0] neg_lo:[0,1] neg_hi:[0,1]
	v_pk_add_f32 v[42:43], v[86:87], v[42:43] op_sel:[0,1] op_sel_hi:[1,0]
	v_mov_b32_e32 v87, v13
	v_mov_b32_e32 v86, v42
	;; [unrolled: 1-line block ×3, first 2 shown]
	v_pk_fma_f32 v[42:43], v[8:9], s[2:3], v[86:87] op_sel_hi:[1,0,1]
	v_pk_fma_f32 v[8:9], v[8:9], s[2:3], v[12:13] op_sel_hi:[1,0,1]
	v_mov_b32_e32 v69, v77
	v_mov_b32_e32 v75, v83
	;; [unrolled: 1-line block ×3, first 2 shown]
	v_pk_fma_f32 v[10:11], v[10:11], s[2:3], v[14:15] op_sel_hi:[1,0,1]
	ds_write2_b64 v39, v[42:43], v[8:9] offset0:10 offset1:15
	v_pk_add_f32 v[8:9], v[72:73], v[68:69] neg_lo:[0,1] neg_hi:[0,1]
	v_pk_add_f32 v[12:13], v[70:71], v[74:75] neg_lo:[0,1] neg_hi:[0,1]
	ds_write_b64 v39, v[10:11] offset:160
	v_pk_add_f32 v[10:11], v[68:69], v[74:75]
	v_pk_add_f32 v[8:9], v[8:9], v[12:13]
	v_pk_fma_f32 v[10:11], v[10:11], 0.5, v[90:91] op_sel_hi:[1,0,1] neg_lo:[1,0,0] neg_hi:[1,0,0]
	v_pk_add_f32 v[12:13], v[72:73], v[70:71] neg_lo:[0,1] neg_hi:[0,1]
	v_pk_add_f32 v[42:43], v[68:69], v[74:75] neg_lo:[0,1] neg_hi:[0,1]
	v_pk_fma_f32 v[14:15], v[12:13], s[6:7], v[10:11] op_sel:[1,0,0] op_sel_hi:[0,0,1] neg_lo:[1,0,0] neg_hi:[1,0,0]
	v_pk_fma_f32 v[10:11], v[12:13], s[6:7], v[10:11] op_sel:[1,0,0] op_sel_hi:[0,0,1]
	v_pk_add_f32 v[76:77], v[90:91], v[72:73]
	v_pk_fma_f32 v[10:11], v[42:43], s[8:9], v[10:11] op_sel:[1,0,0] op_sel_hi:[0,0,1]
	v_pk_fma_f32 v[14:15], v[42:43], s[8:9], v[14:15] op_sel:[1,0,0] op_sel_hi:[0,0,1] neg_lo:[1,0,0] neg_hi:[1,0,0]
	v_pk_add_f32 v[76:77], v[76:77], v[68:69]
	v_mad_legacy_u16 v0, v84, 25, v85
	v_pk_add_f32 v[76:77], v[76:77], v[74:75]
	v_mov_b32_e32 v79, v11
	v_mov_b32_e32 v11, v15
	v_lshlrev_b32_e32 v0, 3, v0
	v_pk_add_f32 v[76:77], v[76:77], v[70:71]
	v_pk_fma_f32 v[10:11], v[8:9], s[2:3], v[10:11] op_sel_hi:[1,0,1]
	ds_write2_b64 v0, v[76:77], v[10:11] offset1:5
	v_pk_add_f32 v[10:11], v[68:69], v[72:73] neg_lo:[0,1] neg_hi:[0,1]
	v_pk_add_f32 v[68:69], v[72:73], v[70:71]
	v_pk_add_f32 v[70:71], v[74:75], v[70:71] neg_lo:[0,1] neg_hi:[0,1]
	v_pk_fma_f32 v[68:69], v[68:69], 0.5, v[90:91] op_sel_hi:[1,0,1] neg_lo:[1,0,0] neg_hi:[1,0,0]
	v_pk_add_f32 v[10:11], v[10:11], v[70:71]
	v_pk_fma_f32 v[70:71], v[42:43], s[6:7], v[68:69] op_sel:[1,0,0] op_sel_hi:[0,0,1]
	v_pk_fma_f32 v[42:43], v[42:43], s[6:7], v[68:69] op_sel:[1,0,0] op_sel_hi:[0,0,1] neg_lo:[1,0,0] neg_hi:[1,0,0]
	v_pk_fma_f32 v[42:43], v[12:13], s[8:9], v[42:43] op_sel:[1,0,0] op_sel_hi:[0,0,1]
	v_pk_fma_f32 v[12:13], v[12:13], s[8:9], v[70:71] op_sel:[1,0,0] op_sel_hi:[0,0,1] neg_lo:[1,0,0] neg_hi:[1,0,0]
	v_mov_b32_e32 v68, v12
	v_mov_b32_e32 v69, v43
	v_mov_b32_e32 v43, v13
	v_mov_b32_e32 v78, v14
	v_pk_fma_f32 v[12:13], v[10:11], s[2:3], v[68:69] op_sel_hi:[1,0,1]
	v_pk_fma_f32 v[10:11], v[10:11], s[2:3], v[42:43] op_sel_hi:[1,0,1]
	v_mov_b32_e32 v59, v65
	v_pk_fma_f32 v[8:9], v[8:9], s[2:3], v[78:79] op_sel_hi:[1,0,1]
	ds_write2_b64 v0, v[10:11], v[12:13] offset0:10 offset1:15
	v_mov_b32_e32 v55, v3
	v_mov_b32_e32 v61, v67
	ds_write_b64 v0, v[8:9] offset:160
	v_accvgpr_write_b32 a51, v0
	v_mad_legacy_u16 v0, v6, 25, v7
	v_pk_add_f32 v[6:7], v[56:57], v[58:59]
	v_pk_add_f32 v[2:3], v[54:55], v[56:57] neg_lo:[0,1] neg_hi:[0,1]
	v_pk_add_f32 v[10:11], v[60:61], v[58:59] neg_lo:[0,1] neg_hi:[0,1]
	v_pk_fma_f32 v[6:7], v[6:7], 0.5, v[92:93] op_sel_hi:[1,0,1] neg_lo:[1,0,0] neg_hi:[1,0,0]
	v_pk_add_f32 v[8:9], v[54:55], v[60:61] neg_lo:[0,1] neg_hi:[0,1]
	v_pk_add_f32 v[2:3], v[2:3], v[10:11]
	v_pk_fma_f32 v[10:11], v[8:9], s[6:7], v[6:7] op_sel:[1,0,0] op_sel_hi:[0,0,1] neg_lo:[1,0,0] neg_hi:[1,0,0]
	v_pk_fma_f32 v[6:7], v[8:9], s[6:7], v[6:7] op_sel:[1,0,0] op_sel_hi:[0,0,1]
	v_pk_add_f32 v[12:13], v[56:57], v[58:59] neg_lo:[0,1] neg_hi:[0,1]
	v_pk_add_f32 v[14:15], v[92:93], v[54:55]
	v_pk_fma_f32 v[6:7], v[12:13], s[8:9], v[6:7] op_sel:[1,0,0] op_sel_hi:[0,0,1]
	v_pk_fma_f32 v[10:11], v[12:13], s[8:9], v[10:11] op_sel:[1,0,0] op_sel_hi:[0,0,1] neg_lo:[1,0,0] neg_hi:[1,0,0]
	v_pk_add_f32 v[14:15], v[14:15], v[56:57]
	v_mov_b32_e32 v43, v7
	v_pk_add_f32 v[14:15], v[14:15], v[58:59]
	v_mov_b32_e32 v7, v11
	v_lshlrev_b32_e32 v35, 3, v0
	v_pk_add_f32 v[14:15], v[14:15], v[60:61]
	v_pk_fma_f32 v[6:7], v[2:3], s[2:3], v[6:7] op_sel_hi:[1,0,1]
	ds_write2_b64 v35, v[14:15], v[6:7] offset1:5
	v_pk_add_f32 v[6:7], v[54:55], v[60:61]
	v_pk_add_f32 v[14:15], v[56:57], v[54:55] neg_lo:[0,1] neg_hi:[0,1]
	v_pk_fma_f32 v[6:7], v[6:7], 0.5, v[92:93] op_sel_hi:[1,0,1] neg_lo:[1,0,0] neg_hi:[1,0,0]
	v_pk_add_f32 v[54:55], v[58:59], v[60:61] neg_lo:[0,1] neg_hi:[0,1]
	v_mov_b32_e32 v42, v10
	v_pk_add_f32 v[14:15], v[14:15], v[54:55]
	v_pk_fma_f32 v[54:55], v[12:13], s[6:7], v[6:7] op_sel:[1,0,0] op_sel_hi:[0,0,1]
	v_pk_fma_f32 v[6:7], v[12:13], s[6:7], v[6:7] op_sel:[1,0,0] op_sel_hi:[0,0,1] neg_lo:[1,0,0] neg_hi:[1,0,0]
	v_pk_fma_f32 v[6:7], v[8:9], s[8:9], v[6:7] op_sel:[1,0,0] op_sel_hi:[0,0,1]
	v_pk_fma_f32 v[8:9], v[8:9], s[8:9], v[54:55] op_sel:[1,0,0] op_sel_hi:[0,0,1] neg_lo:[1,0,0] neg_hi:[1,0,0]
	v_mov_b32_e32 v12, v8
	v_mov_b32_e32 v13, v7
	;; [unrolled: 1-line block ×3, first 2 shown]
	v_pk_fma_f32 v[8:9], v[14:15], s[2:3], v[12:13] op_sel_hi:[1,0,1]
	v_pk_fma_f32 v[6:7], v[14:15], s[2:3], v[6:7] op_sel_hi:[1,0,1]
	ds_write2_b64 v35, v[6:7], v[8:9] offset0:10 offset1:15
	v_mov_b32_e32 v6, v181
	v_mov_b32_e32 v53, v1
	v_pk_mul_f32 v[0:1], v[122:123], v[6:7] op_sel_hi:[1,0]
	v_pk_fma_f32 v[2:3], v[2:3], s[2:3], v[42:43] op_sel_hi:[1,0,1]
	v_pk_fma_f32 v[6:7], v[122:123], v[180:181], v[0:1] op_sel:[0,0,1] op_sel_hi:[1,1,0] neg_lo:[0,0,1] neg_hi:[0,0,1]
	v_pk_fma_f32 v[0:1], v[122:123], v[180:181], v[0:1] op_sel:[0,0,1] op_sel_hi:[1,0,0]
	ds_write_b64 v35, v[2:3] offset:160
	v_mad_legacy_u16 v2, v4, 25, v5
	v_accvgpr_write_b32 a56, v173
	v_mov_b32_e32 v7, v1
	v_lshlrev_b32_e32 v173, 3, v2
	v_pk_add_f32 v[2:3], v[52:53], v[46:47]
	v_pk_add_f32 v[0:1], v[44:45], v[52:53] neg_lo:[0,1] neg_hi:[0,1]
	v_pk_add_f32 v[8:9], v[6:7], v[46:47] neg_lo:[0,1] neg_hi:[0,1]
	v_pk_fma_f32 v[2:3], v[2:3], 0.5, v[40:41] op_sel_hi:[1,0,1] neg_lo:[1,0,0] neg_hi:[1,0,0]
	v_pk_add_f32 v[4:5], v[44:45], v[6:7] neg_lo:[0,1] neg_hi:[0,1]
	v_pk_add_f32 v[0:1], v[0:1], v[8:9]
	v_pk_fma_f32 v[8:9], v[4:5], s[6:7], v[2:3] op_sel:[1,0,0] op_sel_hi:[0,0,1] neg_lo:[1,0,0] neg_hi:[1,0,0]
	v_pk_fma_f32 v[2:3], v[4:5], s[6:7], v[2:3] op_sel:[1,0,0] op_sel_hi:[0,0,1]
	v_pk_add_f32 v[10:11], v[52:53], v[46:47] neg_lo:[0,1] neg_hi:[0,1]
	v_pk_add_f32 v[12:13], v[40:41], v[44:45]
	v_pk_fma_f32 v[2:3], v[10:11], s[8:9], v[2:3] op_sel:[1,0,0] op_sel_hi:[0,0,1]
	v_pk_fma_f32 v[8:9], v[10:11], s[8:9], v[8:9] op_sel:[1,0,0] op_sel_hi:[0,0,1] neg_lo:[1,0,0] neg_hi:[1,0,0]
	v_pk_add_f32 v[12:13], v[12:13], v[52:53]
	v_mov_b32_e32 v15, v3
	v_pk_add_f32 v[12:13], v[12:13], v[46:47]
	v_mov_b32_e32 v3, v9
	v_pk_add_f32 v[12:13], v[12:13], v[6:7]
	v_pk_fma_f32 v[2:3], v[0:1], s[2:3], v[2:3] op_sel_hi:[1,0,1]
	ds_write2_b64 v173, v[12:13], v[2:3] offset1:5
	v_pk_add_f32 v[2:3], v[44:45], v[6:7]
	v_mov_b32_e32 v14, v8
	v_pk_fma_f32 v[2:3], v[2:3], 0.5, v[40:41] op_sel_hi:[1,0,1] neg_lo:[1,0,0] neg_hi:[1,0,0]
	v_pk_add_f32 v[8:9], v[52:53], v[44:45] neg_lo:[0,1] neg_hi:[0,1]
	v_pk_add_f32 v[6:7], v[46:47], v[6:7] neg_lo:[0,1] neg_hi:[0,1]
	v_pk_fma_f32 v[0:1], v[0:1], s[2:3], v[14:15] op_sel_hi:[1,0,1]
	v_pk_add_f32 v[6:7], v[8:9], v[6:7]
	v_pk_fma_f32 v[8:9], v[10:11], s[6:7], v[2:3] op_sel:[1,0,0] op_sel_hi:[0,0,1]
	v_pk_fma_f32 v[2:3], v[10:11], s[6:7], v[2:3] op_sel:[1,0,0] op_sel_hi:[0,0,1] neg_lo:[1,0,0] neg_hi:[1,0,0]
	v_pk_fma_f32 v[2:3], v[4:5], s[8:9], v[2:3] op_sel:[1,0,0] op_sel_hi:[0,0,1]
	v_pk_fma_f32 v[4:5], v[4:5], s[8:9], v[8:9] op_sel:[1,0,0] op_sel_hi:[0,0,1] neg_lo:[1,0,0] neg_hi:[1,0,0]
	v_mov_b32_e32 v8, v4
	v_mov_b32_e32 v9, v3
	;; [unrolled: 1-line block ×3, first 2 shown]
	v_pk_fma_f32 v[4:5], v[6:7], s[2:3], v[8:9] op_sel_hi:[1,0,1]
	v_pk_fma_f32 v[2:3], v[6:7], s[2:3], v[2:3] op_sel_hi:[1,0,1]
	s_movk_i32 s7, 0x47af
	ds_write2_b64 v173, v[2:3], v[4:5] offset0:10 offset1:15
	ds_write_b64 v173, v[0:1] offset:160
	v_mul_u32_u24_sdwa v0, v136, s7 dst_sel:DWORD dst_unused:UNUSED_PAD src0_sel:WORD_0 src1_sel:DWORD
	v_sub_u16_sdwa v1, v136, v0 dst_sel:DWORD dst_unused:UNUSED_PAD src0_sel:DWORD src1_sel:WORD_1
	v_lshrrev_b16_e32 v1, 1, v1
	v_add_u16_sdwa v0, v1, v0 dst_sel:DWORD dst_unused:UNUSED_PAD src0_sel:DWORD src1_sel:WORD_1
	v_lshrrev_b16_e32 v6, 4, v0
	v_mul_lo_u16_e32 v0, 25, v6
	v_sub_u16_e32 v112, v136, v0
	v_mul_u32_u24_sdwa v0, v144, s7 dst_sel:DWORD dst_unused:UNUSED_PAD src0_sel:WORD_0 src1_sel:DWORD
	v_sub_u16_sdwa v1, v144, v0 dst_sel:DWORD dst_unused:UNUSED_PAD src0_sel:DWORD src1_sel:WORD_1
	v_lshrrev_b16_e32 v1, 1, v1
	v_add_u16_sdwa v0, v1, v0 dst_sel:DWORD dst_unused:UNUSED_PAD src0_sel:DWORD src1_sel:WORD_1
	v_lshrrev_b16_e32 v23, 4, v0
	v_mul_lo_u16_e32 v0, 25, v23
	v_sub_u16_e32 v101, v144, v0
	v_lshlrev_b16_e32 v0, 5, v101
	v_mov_b32_e32 v1, v209
	v_lshl_add_u64 v[0:1], s[10:11], 0, v[0:1]
	v_lshlrev_b16_e32 v2, 5, v112
	v_mov_b32_e32 v3, v209
	s_waitcnt lgkmcnt(0)
	s_barrier
	global_load_dwordx4 v[40:43], v[0:1], off offset:160
	v_lshl_add_u64 v[2:3], s[10:11], 0, v[2:3]
	global_load_dwordx4 v[44:47], v[2:3], off offset:160
	global_load_dwordx4 v[72:75], v[0:1], off offset:176
	;; [unrolled: 1-line block ×3, first 2 shown]
	v_mul_u32_u24_sdwa v0, v128, s7 dst_sel:DWORD dst_unused:UNUSED_PAD src0_sel:WORD_0 src1_sel:DWORD
	v_sub_u16_sdwa v1, v128, v0 dst_sel:DWORD dst_unused:UNUSED_PAD src0_sel:DWORD src1_sel:WORD_1
	v_lshrrev_b16_e32 v1, 1, v1
	v_add_u16_sdwa v0, v1, v0 dst_sel:DWORD dst_unused:UNUSED_PAD src0_sel:DWORD src1_sel:WORD_1
	v_lshrrev_b16_e32 v7, 4, v0
	v_mul_lo_u16_e32 v0, 25, v7
	v_sub_u16_e32 v16, v128, v0
	v_lshlrev_b16_e32 v0, 5, v16
	v_mov_b32_e32 v1, v209
	v_lshl_add_u64 v[0:1], s[10:11], 0, v[0:1]
	global_load_dwordx4 v[48:51], v[0:1], off offset:160
	global_load_dwordx4 v[76:79], v[0:1], off offset:176
	v_mov_b32_e32 v17, 41
	v_mul_lo_u16_sdwa v0, v100, v17 dst_sel:DWORD dst_unused:UNUSED_PAD src0_sel:BYTE_0 src1_sel:DWORD
	v_lshrrev_b16_e32 v18, 10, v0
	v_mul_lo_u16_e32 v0, 25, v18
	v_sub_u16_e32 v0, v100, v0
	v_and_b32_e32 v19, 0xff, v0
	v_lshlrev_b32_e32 v0, 5, v19
	global_load_dwordx4 v[60:63], v0, s[10:11] offset:160
	global_load_dwordx4 v[80:83], v0, s[10:11] offset:176
	ds_read2_b64 v[2:5], v205 offset0:104 offset1:229
	ds_read2_b64 v[52:55], v202 offset0:74 offset1:199
	;; [unrolled: 1-line block ×3, first 2 shown]
	v_mov_b32_e32 v181, v142
	s_waitcnt vmcnt(7) lgkmcnt(2)
	v_pk_mul_f32 v[0:1], v[4:5], v[40:41] op_sel:[0,1]
	s_nop 0
	v_pk_fma_f32 v[56:57], v[4:5], v[40:41], v[0:1] op_sel:[0,0,1] op_sel_hi:[1,1,0] neg_lo:[0,0,1] neg_hi:[0,0,1]
	v_pk_fma_f32 v[68:69], v[4:5], v[40:41], v[0:1] op_sel:[0,0,1] op_sel_hi:[1,0,0]
	s_waitcnt vmcnt(6)
	v_pk_mul_f32 v[4:5], v[2:3], v[44:45] op_sel:[0,1]
	s_waitcnt vmcnt(4) lgkmcnt(1)
	v_pk_mul_f32 v[8:9], v[52:53], v[64:65] op_sel:[0,1]
	v_pk_fma_f32 v[0:1], v[2:3], v[44:45], v[4:5] op_sel:[0,0,1] op_sel_hi:[1,1,0] neg_lo:[0,0,1] neg_hi:[0,0,1]
	v_pk_fma_f32 v[94:95], v[2:3], v[44:45], v[4:5] op_sel:[0,0,1] op_sel_hi:[1,0,0]
	v_pk_mul_f32 v[2:3], v[54:55], v[72:73] op_sel:[0,1]
	v_pk_fma_f32 v[88:89], v[52:53], v[64:65], v[8:9] op_sel:[0,0,1] op_sel_hi:[1,1,0] neg_lo:[0,0,1] neg_hi:[0,0,1]
	v_pk_fma_f32 v[58:59], v[54:55], v[72:73], v[2:3] op_sel:[0,0,1] op_sel_hi:[1,1,0] neg_lo:[0,0,1] neg_hi:[0,0,1]
	v_pk_fma_f32 v[70:71], v[54:55], v[72:73], v[2:3] op_sel:[0,0,1] op_sel_hi:[1,0,0]
	ds_read2_b64 v[2:5], v203 offset0:92 offset1:217
	v_pk_fma_f32 v[102:103], v[52:53], v[64:65], v[8:9] op_sel:[0,0,1] op_sel_hi:[1,0,0]
	v_mov_b32_e32 v10, v47
	ds_read2_b64 v[52:55], v145 offset0:62 offset1:187
	v_mul_lo_u16_sdwa v1, v204, v17 dst_sel:DWORD dst_unused:UNUSED_PAD src0_sel:BYTE_0 src1_sel:DWORD
	s_waitcnt lgkmcnt(1)
	v_pk_mul_f32 v[8:9], v[4:5], v[10:11] op_sel_hi:[1,0]
	v_lshrrev_b16_e32 v1, 10, v1
	v_pk_fma_f32 v[90:91], v[4:5], v[46:47], v[8:9] op_sel:[0,0,1] op_sel_hi:[1,1,0] neg_lo:[0,0,1] neg_hi:[0,0,1]
	v_pk_fma_f32 v[104:105], v[4:5], v[46:47], v[8:9] op_sel:[0,0,1] op_sel_hi:[1,0,0]
	s_waitcnt vmcnt(3)
	v_mov_b32_e32 v8, v51
	v_pk_mul_f32 v[4:5], v[2:3], v[8:9] op_sel_hi:[1,0]
	s_waitcnt vmcnt(1)
	v_pk_mul_f32 v[14:15], v[84:85], v[60:61] op_sel:[0,1]
	v_pk_fma_f32 v[110:111], v[2:3], v[50:51], v[4:5] op_sel:[0,0,1] op_sel_hi:[1,1,0] neg_lo:[0,0,1] neg_hi:[0,0,1]
	v_pk_fma_f32 v[8:9], v[2:3], v[50:51], v[4:5] op_sel:[0,0,1] op_sel_hi:[1,0,0]
	v_mov_b32_e32 v4, v67
	s_waitcnt lgkmcnt(0)
	v_pk_mul_f32 v[2:3], v[54:55], v[4:5] op_sel_hi:[1,0]
	v_pk_fma_f32 v[122:123], v[84:85], v[60:61], v[14:15] op_sel:[0,0,1] op_sel_hi:[1,1,0] neg_lo:[0,0,1] neg_hi:[0,0,1]
	v_pk_fma_f32 v[92:93], v[54:55], v[66:67], v[2:3] op_sel:[0,0,1] op_sel_hi:[1,1,0] neg_lo:[0,0,1] neg_hi:[0,0,1]
	v_pk_fma_f32 v[106:107], v[54:55], v[66:67], v[2:3] op_sel:[0,0,1] op_sel_hi:[1,0,0]
	v_mov_b32_e32 v2, v79
	v_pk_mul_f32 v[4:5], v[52:53], v[2:3] op_sel_hi:[1,0]
	v_pk_fma_f32 v[14:15], v[84:85], v[60:61], v[14:15] op_sel:[0,0,1] op_sel_hi:[1,0,0]
	v_pk_fma_f32 v[2:3], v[52:53], v[78:79], v[4:5] op_sel:[0,0,1] op_sel_hi:[1,1,0] neg_lo:[0,0,1] neg_hi:[0,0,1]
	v_pk_fma_f32 v[10:11], v[52:53], v[78:79], v[4:5] op_sel:[0,0,1] op_sel_hi:[1,0,0]
	ds_read2_b64 v[52:55], v137 offset0:80 offset1:205
	v_mul_lo_u16_e32 v3, 25, v1
	v_pk_mul_f32 v[12:13], v[86:87], v[48:49] op_sel:[0,1]
	v_sub_u16_e32 v3, v204, v3
	v_pk_fma_f32 v[4:5], v[86:87], v[48:49], v[12:13] op_sel:[0,0,1] op_sel_hi:[1,1,0] neg_lo:[0,0,1] neg_hi:[0,0,1]
	s_waitcnt lgkmcnt(0)
	v_pk_mul_f32 v[84:85], v[54:55], v[76:77] op_sel:[0,1]
	v_and_b32_e32 v3, 0xff, v3
	v_pk_fma_f32 v[124:125], v[54:55], v[76:77], v[84:85] op_sel:[0,0,1] op_sel_hi:[1,1,0] neg_lo:[0,0,1] neg_hi:[0,0,1]
	v_pk_fma_f32 v[126:127], v[54:55], v[76:77], v[84:85] op_sel:[0,0,1] op_sel_hi:[1,0,0]
	s_waitcnt vmcnt(0)
	v_pk_mul_f32 v[54:55], v[52:53], v[80:81] op_sel:[0,1]
	v_mov_b32_e32 v8, v63
	v_pk_fma_f32 v[130:131], v[52:53], v[80:81], v[54:55] op_sel:[0,0,1] op_sel_hi:[1,1,0] neg_lo:[0,0,1] neg_hi:[0,0,1]
	v_pk_fma_f32 v[132:133], v[52:53], v[80:81], v[54:55] op_sel:[0,0,1] op_sel_hi:[1,0,0]
	ds_read2_b64 v[52:55], v223 offset0:98 offset1:223
	v_lshlrev_b32_e32 v5, 5, v3
	v_pk_fma_f32 v[12:13], v[86:87], v[48:49], v[12:13] op_sel:[0,0,1] op_sel_hi:[1,0,0]
	v_mul_u32_u24_e32 v1, 0x7d, v1
	v_accvgpr_write_b32 a80, v43
	s_waitcnt lgkmcnt(0)
	v_pk_mul_f32 v[84:85], v[54:55], v[8:9] op_sel_hi:[1,0]
	v_mov_b32_e32 v123, v15
	v_pk_fma_f32 v[134:135], v[54:55], v[62:63], v[84:85] op_sel:[0,0,1] op_sel_hi:[1,1,0] neg_lo:[0,0,1] neg_hi:[0,0,1]
	v_pk_fma_f32 v[138:139], v[54:55], v[62:63], v[84:85] op_sel:[0,0,1] op_sel_hi:[1,0,0]
	global_load_dwordx4 v[84:87], v5, s[10:11] offset:160
	global_load_dwordx4 v[96:99], v5, s[10:11] offset:176
	v_mov_b32_e32 v135, v139
	v_mov_b32_e32 v131, v133
	v_accvgpr_write_b32 a72, v63
	v_mov_b32_e32 v5, v13
	v_mov_b32_e32 v111, v9
	v_mov_b32_e32 v125, v127
	v_accvgpr_write_b32 a68, v47
	v_mov_b32_e32 v91, v105
	;; [unrolled: 4-line block ×3, first 2 shown]
	v_mov_b32_e32 v59, v71
	v_accvgpr_write_b32 a86, v67
	v_lshlrev_b32_e32 v102, 5, v204
	v_accvgpr_write_b32 a114, v75
	v_accvgpr_write_b32 a90, v83
	v_mov_b32_e32 v103, v209
	v_accvgpr_write_b32 a78, v79
	v_mov_b32_e32 v79, v129
	s_waitcnt vmcnt(1)
	v_mov_b32_e32 v8, v87
	v_pk_mul_f32 v[54:55], v[52:53], v[8:9] op_sel_hi:[1,0]
	v_mov_b32_e32 v8, v43
	v_pk_fma_f32 v[140:141], v[52:53], v[86:87], v[54:55] op_sel:[0,0,1] op_sel_hi:[1,1,0] neg_lo:[0,0,1] neg_hi:[0,0,1]
	v_pk_fma_f32 v[114:115], v[52:53], v[86:87], v[54:55] op_sel:[0,0,1] op_sel_hi:[1,0,0]
	ds_read2_b64 v[52:55], v142 offset0:86 offset1:211
	v_mov_b32_e32 v141, v115
	v_accvgpr_write_b32 a74, v87
	s_waitcnt vmcnt(0)
	v_accvgpr_write_b32 a84, v99
	s_waitcnt lgkmcnt(0)
	v_pk_mul_f32 v[116:117], v[52:53], v[8:9] op_sel_hi:[1,0]
	s_nop 0
	v_pk_fma_f32 v[108:109], v[52:53], v[42:43], v[116:117] op_sel:[0,0,1] op_sel_hi:[1,1,0] neg_lo:[0,0,1] neg_hi:[0,0,1]
	v_pk_fma_f32 v[142:143], v[52:53], v[42:43], v[116:117] op_sel:[0,0,1] op_sel_hi:[1,0,0]
	v_pk_mul_f32 v[52:53], v[54:55], v[96:97] op_sel:[0,1]
	v_mov_b32_e32 v8, v83
	v_pk_fma_f32 v[146:147], v[54:55], v[96:97], v[52:53] op_sel:[0,0,1] op_sel_hi:[1,1,0] neg_lo:[0,0,1] neg_hi:[0,0,1]
	v_pk_fma_f32 v[116:117], v[54:55], v[96:97], v[52:53] op_sel:[0,0,1] op_sel_hi:[1,0,0]
	ds_read2_b64 v[52:55], v222 offset0:68 offset1:193
	v_mov_b32_e32 v147, v117
	v_pk_add_f32 v[162:163], v[140:141], v[146:147] neg_lo:[0,1] neg_hi:[0,1]
	v_add_lshl_u32 v43, v1, v3, 3
	v_mul_u32_u24_e32 v1, 0x7d, v18
	s_waitcnt lgkmcnt(0)
	v_pk_mul_f32 v[118:119], v[54:55], v[8:9] op_sel_hi:[1,0]
	v_mov_b32_e32 v8, v99
	v_pk_fma_f32 v[148:149], v[54:55], v[82:83], v[118:119] op_sel:[0,0,1] op_sel_hi:[1,1,0] neg_lo:[0,0,1] neg_hi:[0,0,1]
	v_pk_fma_f32 v[150:151], v[54:55], v[82:83], v[118:119] op_sel:[0,0,1] op_sel_hi:[1,0,0]
	v_pk_mul_f32 v[54:55], v[52:53], v[8:9] op_sel_hi:[1,0]
	v_mov_b32_e32 v149, v151
	v_pk_fma_f32 v[152:153], v[52:53], v[98:99], v[54:55] op_sel:[0,0,1] op_sel_hi:[1,1,0] neg_lo:[0,0,1] neg_hi:[0,0,1]
	v_pk_fma_f32 v[118:119], v[52:53], v[98:99], v[54:55] op_sel:[0,0,1] op_sel_hi:[1,0,0]
	ds_read2_b64 v[52:55], v129 offset0:116 offset1:241
	v_mov_b32_e32 v153, v119
	v_pk_add_f32 v[114:115], v[152:153], v[146:147] neg_lo:[0,1] neg_hi:[0,1]
	v_pk_add_f32 v[118:119], v[140:141], v[146:147]
	v_add_lshl_u32 v63, v1, v19, 3
	s_waitcnt lgkmcnt(0)
	v_pk_mul_f32 v[120:121], v[54:55], v[84:85] op_sel:[0,1]
	v_mov_b32_e32 v3, v11
	v_pk_fma_f32 v[154:155], v[54:55], v[84:85], v[120:121] op_sel:[0,0,1] op_sel_hi:[1,1,0] neg_lo:[0,0,1] neg_hi:[0,0,1]
	v_pk_fma_f32 v[54:55], v[54:55], v[84:85], v[120:121] op_sel:[0,0,1] op_sel_hi:[1,0,0]
	v_pk_add_f32 v[8:9], v[4:5], v[110:111] neg_lo:[0,1] neg_hi:[0,1]
	v_mov_b32_e32 v155, v55
	v_pk_add_f32 v[54:55], v[154:155], v[140:141] neg_lo:[0,1] neg_hi:[0,1]
	v_pk_add_f32 v[158:159], v[154:155], v[152:153] neg_lo:[0,1] neg_hi:[0,1]
	v_pk_add_f32 v[54:55], v[54:55], v[114:115]
	ds_read2_b64 v[114:117], v208 offset1:125
	v_pk_mul_f32 v[120:121], v[158:159], s[6:7] op_sel_hi:[1,0]
	v_pk_add_f32 v[10:11], v[2:3], v[124:125] neg_lo:[0,1] neg_hi:[0,1]
	v_pk_add_f32 v[12:13], v[4:5], v[2:3] neg_lo:[0,1] neg_hi:[0,1]
	v_pk_add_f32 v[8:9], v[8:9], v[10:11]
	s_waitcnt lgkmcnt(0)
	v_pk_fma_f32 v[118:119], v[118:119], 0.5, v[114:115] op_sel_hi:[1,0,1] neg_lo:[1,0,0] neg_hi:[1,0,0]
	v_mad_legacy_u16 v1, v7, s16, v16
	v_pk_add_f32 v[160:161], v[118:119], v[120:121] op_sel:[0,1] op_sel_hi:[1,0]
	v_pk_add_f32 v[118:119], v[118:119], v[120:121] op_sel:[0,1] op_sel_hi:[1,0] neg_lo:[0,1] neg_hi:[0,1]
	v_pk_mul_f32 v[120:121], v[162:163], s[8:9] op_sel_hi:[1,0]
	v_lshlrev_b32_e32 v47, 3, v1
	v_pk_add_f32 v[164:165], v[118:119], v[120:121] op_sel:[0,1] op_sel_hi:[1,0] neg_lo:[0,1] neg_hi:[0,1]
	v_pk_add_f32 v[118:119], v[114:115], v[154:155]
	v_pk_add_f32 v[160:161], v[160:161], v[120:121] op_sel:[0,1] op_sel_hi:[1,0]
	v_pk_add_f32 v[118:119], v[118:119], v[140:141]
	v_pk_add_f32 v[140:141], v[140:141], v[154:155] neg_lo:[0,1] neg_hi:[0,1]
	v_pk_add_f32 v[118:119], v[118:119], v[146:147]
	v_pk_add_f32 v[154:155], v[154:155], v[152:153]
	v_pk_add_f32 v[146:147], v[146:147], v[152:153] neg_lo:[0,1] neg_hi:[0,1]
	v_pk_fma_f32 v[114:115], v[154:155], 0.5, v[114:115] op_sel_hi:[1,0,1] neg_lo:[1,0,0] neg_hi:[1,0,0]
	v_pk_add_f32 v[140:141], v[140:141], v[146:147]
	v_pk_mul_f32 v[146:147], v[162:163], s[6:7] op_sel_hi:[1,0]
	v_pk_add_f32 v[224:225], v[118:119], v[152:153]
	v_pk_add_f32 v[152:153], v[114:115], v[146:147] op_sel:[0,1] op_sel_hi:[1,0] neg_lo:[0,1] neg_hi:[0,1]
	v_pk_add_f32 v[114:115], v[114:115], v[146:147] op_sel:[0,1] op_sel_hi:[1,0]
	v_pk_mul_f32 v[146:147], v[158:159], s[8:9] op_sel_hi:[1,0]
	v_mov_b32_e32 v235, v165
	v_pk_add_f32 v[114:115], v[114:115], v[146:147] op_sel:[0,1] op_sel_hi:[1,0] neg_lo:[0,1] neg_hi:[0,1]
	v_pk_add_f32 v[146:147], v[152:153], v[146:147] op_sel:[0,1] op_sel_hi:[1,0]
	v_mov_b32_e32 v165, v161
	v_mov_b32_e32 v234, v160
	;; [unrolled: 1-line block ×5, first 2 shown]
	v_pk_fma_f32 v[14:15], v[54:55], s[2:3], v[164:165] op_sel_hi:[1,0,1]
	ds_read_b64 v[230:231], v208 offset:24000
	ds_read2_b64 v[118:121], v206 offset0:122 offset1:247
	s_waitcnt lgkmcnt(0)
	s_barrier
	v_pk_fma_f32 v[234:235], v[54:55], s[2:3], v[234:235] op_sel_hi:[1,0,1]
	v_pk_fma_f32 v[146:147], v[140:141], s[2:3], v[152:153] op_sel_hi:[1,0,1]
	;; [unrolled: 1-line block ×3, first 2 shown]
	ds_write_b64 v43, v[14:15] offset:800
	v_pk_add_f32 v[14:15], v[122:123], v[134:135] neg_lo:[0,1] neg_hi:[0,1]
	v_pk_add_f32 v[54:55], v[148:149], v[130:131] neg_lo:[0,1] neg_hi:[0,1]
	ds_write2_b64 v43, v[146:147], v[114:115] offset0:50 offset1:75
	v_pk_add_f32 v[14:15], v[14:15], v[54:55]
	v_pk_add_f32 v[54:55], v[134:135], v[130:131]
	v_pk_add_f32 v[114:115], v[122:123], v[148:149] neg_lo:[0,1] neg_hi:[0,1]
	v_pk_fma_f32 v[54:55], v[54:55], 0.5, v[116:117] op_sel_hi:[1,0,1] neg_lo:[1,0,0] neg_hi:[1,0,0]
	v_pk_mul_f32 v[132:133], v[114:115], s[6:7] op_sel_hi:[1,0]
	ds_write2_b64 v43, v[224:225], v[234:235] offset1:25
	v_pk_add_f32 v[138:139], v[54:55], v[132:133] op_sel:[0,1] op_sel_hi:[1,0]
	v_pk_add_f32 v[54:55], v[54:55], v[132:133] op_sel:[0,1] op_sel_hi:[1,0] neg_lo:[0,1] neg_hi:[0,1]
	v_pk_add_f32 v[132:133], v[134:135], v[130:131] neg_lo:[0,1] neg_hi:[0,1]
	v_pk_mul_f32 v[114:115], v[114:115], s[8:9] op_sel_hi:[1,0]
	v_pk_mul_f32 v[140:141], v[132:133], s[8:9] op_sel_hi:[1,0]
	v_mov_b32_e32 v1, v95
	v_pk_add_f32 v[54:55], v[54:55], v[140:141] op_sel:[0,1] op_sel_hi:[1,0] neg_lo:[0,1] neg_hi:[0,1]
	v_pk_add_f32 v[138:139], v[138:139], v[140:141] op_sel:[0,1] op_sel_hi:[1,0]
	v_pk_add_f32 v[140:141], v[116:117], v[122:123]
	v_mov_b32_e32 v146, v138
	v_pk_add_f32 v[140:141], v[140:141], v[134:135]
	v_mov_b32_e32 v147, v55
	v_pk_add_f32 v[140:141], v[140:141], v[130:131]
	v_pk_fma_f32 v[146:147], v[14:15], s[2:3], v[146:147] op_sel_hi:[1,0,1]
	v_pk_add_f32 v[140:141], v[140:141], v[148:149]
	ds_write2_b64 v63, v[140:141], v[146:147] offset1:25
	v_pk_add_f32 v[140:141], v[122:123], v[148:149]
	v_pk_add_f32 v[122:123], v[134:135], v[122:123] neg_lo:[0,1] neg_hi:[0,1]
	v_pk_add_f32 v[130:131], v[130:131], v[148:149] neg_lo:[0,1] neg_hi:[0,1]
	v_pk_fma_f32 v[116:117], v[140:141], 0.5, v[116:117] op_sel_hi:[1,0,1] neg_lo:[1,0,0] neg_hi:[1,0,0]
	v_pk_add_f32 v[122:123], v[122:123], v[130:131]
	v_pk_mul_f32 v[130:131], v[132:133], s[6:7] op_sel_hi:[1,0]
	v_mov_b32_e32 v55, v139
	v_pk_add_f32 v[132:133], v[116:117], v[130:131] op_sel:[0,1] op_sel_hi:[1,0] neg_lo:[0,1] neg_hi:[0,1]
	v_pk_add_f32 v[116:117], v[116:117], v[130:131] op_sel:[0,1] op_sel_hi:[1,0]
	v_pk_fma_f32 v[10:11], v[14:15], s[2:3], v[54:55] op_sel_hi:[1,0,1]
	v_pk_add_f32 v[116:117], v[116:117], v[114:115] op_sel:[0,1] op_sel_hi:[1,0] neg_lo:[0,1] neg_hi:[0,1]
	v_pk_add_f32 v[114:115], v[132:133], v[114:115] op_sel:[0,1] op_sel_hi:[1,0]
	v_mov_b32_e32 v131, v117
	v_mov_b32_e32 v130, v114
	;; [unrolled: 1-line block ×3, first 2 shown]
	ds_write_b64 v63, v[10:11] offset:800
	v_pk_add_f32 v[10:11], v[110:111], v[124:125]
	v_pk_fma_f32 v[114:115], v[122:123], s[2:3], v[130:131] op_sel_hi:[1,0,1]
	v_pk_fma_f32 v[116:117], v[122:123], s[2:3], v[116:117] op_sel_hi:[1,0,1]
	v_pk_fma_f32 v[10:11], v[10:11], 0.5, v[118:119] op_sel_hi:[1,0,1] neg_lo:[1,0,0] neg_hi:[1,0,0]
	ds_write2_b64 v63, v[114:115], v[116:117] offset0:50 offset1:75
	v_pk_fma_f32 v[14:15], v[12:13], s[6:7], v[10:11] op_sel:[1,0,0] op_sel_hi:[0,0,1] neg_lo:[1,0,0] neg_hi:[1,0,0]
	v_pk_fma_f32 v[10:11], v[12:13], s[6:7], v[10:11] op_sel:[1,0,0] op_sel_hi:[0,0,1]
	v_pk_add_f32 v[54:55], v[110:111], v[124:125] neg_lo:[0,1] neg_hi:[0,1]
	v_pk_add_f32 v[114:115], v[118:119], v[4:5]
	v_pk_fma_f32 v[10:11], v[54:55], s[8:9], v[10:11] op_sel:[1,0,0] op_sel_hi:[0,0,1]
	v_pk_fma_f32 v[14:15], v[54:55], s[8:9], v[14:15] op_sel:[1,0,0] op_sel_hi:[0,0,1] neg_lo:[1,0,0] neg_hi:[1,0,0]
	v_pk_add_f32 v[114:115], v[114:115], v[110:111]
	v_mov_b32_e32 v117, v11
	v_pk_add_f32 v[114:115], v[114:115], v[124:125]
	v_mov_b32_e32 v11, v15
	v_pk_add_f32 v[114:115], v[114:115], v[2:3]
	v_pk_fma_f32 v[10:11], v[8:9], s[2:3], v[10:11] op_sel_hi:[1,0,1]
	ds_write2_b64 v47, v[114:115], v[10:11] offset1:25
	v_pk_add_f32 v[10:11], v[110:111], v[4:5] neg_lo:[0,1] neg_hi:[0,1]
	v_pk_add_f32 v[4:5], v[4:5], v[2:3]
	v_pk_add_f32 v[2:3], v[124:125], v[2:3] neg_lo:[0,1] neg_hi:[0,1]
	v_pk_fma_f32 v[4:5], v[4:5], 0.5, v[118:119] op_sel_hi:[1,0,1] neg_lo:[1,0,0] neg_hi:[1,0,0]
	v_pk_add_f32 v[2:3], v[10:11], v[2:3]
	v_pk_fma_f32 v[10:11], v[54:55], s[6:7], v[4:5] op_sel:[1,0,0] op_sel_hi:[0,0,1]
	v_pk_fma_f32 v[4:5], v[54:55], s[6:7], v[4:5] op_sel:[1,0,0] op_sel_hi:[0,0,1] neg_lo:[1,0,0] neg_hi:[1,0,0]
	v_pk_fma_f32 v[4:5], v[12:13], s[8:9], v[4:5] op_sel:[1,0,0] op_sel_hi:[0,0,1]
	v_pk_fma_f32 v[10:11], v[12:13], s[8:9], v[10:11] op_sel:[1,0,0] op_sel_hi:[0,0,1] neg_lo:[1,0,0] neg_hi:[1,0,0]
	v_mov_b32_e32 v12, v10
	v_mov_b32_e32 v13, v5
	;; [unrolled: 1-line block ×3, first 2 shown]
	v_pk_fma_f32 v[10:11], v[2:3], s[2:3], v[12:13] op_sel_hi:[1,0,1]
	v_pk_fma_f32 v[2:3], v[2:3], s[2:3], v[4:5] op_sel_hi:[1,0,1]
	ds_write2_b64 v47, v[2:3], v[10:11] offset0:50 offset1:75
	v_pk_add_f32 v[2:3], v[0:1], v[90:91] neg_lo:[0,1] neg_hi:[0,1]
	v_pk_add_f32 v[4:5], v[92:93], v[88:89] neg_lo:[0,1] neg_hi:[0,1]
	v_mov_b32_e32 v116, v14
	v_pk_add_f32 v[2:3], v[2:3], v[4:5]
	v_pk_fma_f32 v[4:5], v[8:9], s[2:3], v[116:117] op_sel_hi:[1,0,1]
	ds_write_b64 v47, v[4:5] offset:800
	v_mad_legacy_u16 v4, v6, s16, v112
	v_lshlrev_b32_e32 v51, 3, v4
	v_pk_add_f32 v[4:5], v[90:91], v[88:89]
	v_pk_add_f32 v[6:7], v[0:1], v[92:93] neg_lo:[0,1] neg_hi:[0,1]
	v_pk_fma_f32 v[4:5], v[4:5], 0.5, v[120:121] op_sel_hi:[1,0,1] neg_lo:[1,0,0] neg_hi:[1,0,0]
	v_pk_add_f32 v[10:11], v[90:91], v[88:89] neg_lo:[0,1] neg_hi:[0,1]
	v_pk_fma_f32 v[8:9], v[6:7], s[6:7], v[4:5] op_sel:[1,0,0] op_sel_hi:[0,0,1] neg_lo:[1,0,0] neg_hi:[1,0,0]
	v_pk_fma_f32 v[4:5], v[6:7], s[6:7], v[4:5] op_sel:[1,0,0] op_sel_hi:[0,0,1]
	v_pk_add_f32 v[12:13], v[120:121], v[0:1]
	v_pk_fma_f32 v[4:5], v[10:11], s[8:9], v[4:5] op_sel:[1,0,0] op_sel_hi:[0,0,1]
	v_pk_fma_f32 v[8:9], v[10:11], s[8:9], v[8:9] op_sel:[1,0,0] op_sel_hi:[0,0,1] neg_lo:[1,0,0] neg_hi:[1,0,0]
	v_pk_add_f32 v[12:13], v[12:13], v[90:91]
	v_mov_b32_e32 v15, v5
	v_pk_add_f32 v[12:13], v[12:13], v[88:89]
	v_mov_b32_e32 v5, v9
	v_pk_add_f32 v[12:13], v[12:13], v[92:93]
	v_pk_fma_f32 v[4:5], v[2:3], s[2:3], v[4:5] op_sel_hi:[1,0,1]
	ds_write2_b64 v51, v[12:13], v[4:5] offset1:25
	v_pk_add_f32 v[4:5], v[0:1], v[92:93]
	v_pk_add_f32 v[0:1], v[90:91], v[0:1] neg_lo:[0,1] neg_hi:[0,1]
	v_pk_fma_f32 v[4:5], v[4:5], 0.5, v[120:121] op_sel_hi:[1,0,1] neg_lo:[1,0,0] neg_hi:[1,0,0]
	v_pk_add_f32 v[12:13], v[88:89], v[92:93] neg_lo:[0,1] neg_hi:[0,1]
	v_mov_b32_e32 v14, v8
	v_pk_add_f32 v[0:1], v[0:1], v[12:13]
	v_pk_fma_f32 v[12:13], v[10:11], s[6:7], v[4:5] op_sel:[1,0,0] op_sel_hi:[0,0,1]
	v_pk_fma_f32 v[4:5], v[10:11], s[6:7], v[4:5] op_sel:[1,0,0] op_sel_hi:[0,0,1] neg_lo:[1,0,0] neg_hi:[1,0,0]
	v_pk_fma_f32 v[4:5], v[6:7], s[8:9], v[4:5] op_sel:[1,0,0] op_sel_hi:[0,0,1]
	v_pk_fma_f32 v[6:7], v[6:7], s[8:9], v[12:13] op_sel:[1,0,0] op_sel_hi:[0,0,1] neg_lo:[1,0,0] neg_hi:[1,0,0]
	v_mov_b32_e32 v10, v6
	v_mov_b32_e32 v11, v5
	;; [unrolled: 1-line block ×3, first 2 shown]
	v_pk_fma_f32 v[6:7], v[0:1], s[2:3], v[10:11] op_sel_hi:[1,0,1]
	v_pk_fma_f32 v[0:1], v[0:1], s[2:3], v[4:5] op_sel_hi:[1,0,1]
	v_mov_b32_e32 v4, v75
	ds_write2_b64 v51, v[0:1], v[6:7] offset0:50 offset1:75
	v_pk_mul_f32 v[0:1], v[230:231], v[4:5] op_sel_hi:[1,0]
	v_pk_fma_f32 v[2:3], v[2:3], s[2:3], v[14:15] op_sel_hi:[1,0,1]
	v_pk_fma_f32 v[4:5], v[230:231], v[74:75], v[0:1] op_sel:[0,0,1] op_sel_hi:[1,1,0] neg_lo:[0,0,1] neg_hi:[0,0,1]
	v_pk_fma_f32 v[0:1], v[230:231], v[74:75], v[0:1] op_sel:[0,0,1] op_sel_hi:[1,0,0]
	v_mov_b32_e32 v109, v143
	v_mov_b32_e32 v5, v1
	ds_write_b64 v51, v[2:3] offset:800
	v_mad_legacy_u16 v2, v23, s16, v101
	v_pk_add_f32 v[0:1], v[56:57], v[108:109] neg_lo:[0,1] neg_hi:[0,1]
	v_pk_add_f32 v[6:7], v[4:5], v[58:59] neg_lo:[0,1] neg_hi:[0,1]
	v_lshlrev_b32_e32 v67, 3, v2
	v_pk_add_f32 v[2:3], v[108:109], v[58:59]
	v_pk_add_f32 v[0:1], v[0:1], v[6:7]
	v_pk_fma_f32 v[2:3], v[2:3], 0.5, v[52:53] op_sel_hi:[1,0,1] neg_lo:[1,0,0] neg_hi:[1,0,0]
	v_pk_add_f32 v[6:7], v[56:57], v[4:5] neg_lo:[0,1] neg_hi:[0,1]
	v_pk_add_f32 v[10:11], v[108:109], v[58:59] neg_lo:[0,1] neg_hi:[0,1]
	v_pk_fma_f32 v[8:9], v[6:7], s[6:7], v[2:3] op_sel:[1,0,0] op_sel_hi:[0,0,1] neg_lo:[1,0,0] neg_hi:[1,0,0]
	v_pk_fma_f32 v[2:3], v[6:7], s[6:7], v[2:3] op_sel:[1,0,0] op_sel_hi:[0,0,1]
	v_pk_add_f32 v[12:13], v[52:53], v[56:57]
	v_pk_fma_f32 v[2:3], v[10:11], s[8:9], v[2:3] op_sel:[1,0,0] op_sel_hi:[0,0,1]
	v_pk_fma_f32 v[8:9], v[10:11], s[8:9], v[8:9] op_sel:[1,0,0] op_sel_hi:[0,0,1] neg_lo:[1,0,0] neg_hi:[1,0,0]
	v_pk_add_f32 v[12:13], v[12:13], v[108:109]
	v_mov_b32_e32 v15, v3
	v_pk_add_f32 v[12:13], v[12:13], v[58:59]
	v_mov_b32_e32 v3, v9
	v_pk_add_f32 v[12:13], v[12:13], v[4:5]
	v_pk_fma_f32 v[2:3], v[0:1], s[2:3], v[2:3] op_sel_hi:[1,0,1]
	ds_write2_b64 v67, v[12:13], v[2:3] offset1:25
	v_pk_add_f32 v[2:3], v[56:57], v[4:5]
	v_pk_add_f32 v[12:13], v[108:109], v[56:57] neg_lo:[0,1] neg_hi:[0,1]
	v_pk_fma_f32 v[2:3], v[2:3], 0.5, v[52:53] op_sel_hi:[1,0,1] neg_lo:[1,0,0] neg_hi:[1,0,0]
	v_pk_add_f32 v[4:5], v[58:59], v[4:5] neg_lo:[0,1] neg_hi:[0,1]
	v_mov_b32_e32 v14, v8
	v_pk_add_f32 v[4:5], v[12:13], v[4:5]
	v_pk_fma_f32 v[12:13], v[10:11], s[6:7], v[2:3] op_sel:[1,0,0] op_sel_hi:[0,0,1]
	v_pk_fma_f32 v[2:3], v[10:11], s[6:7], v[2:3] op_sel:[1,0,0] op_sel_hi:[0,0,1] neg_lo:[1,0,0] neg_hi:[1,0,0]
	v_pk_fma_f32 v[0:1], v[0:1], s[2:3], v[14:15] op_sel_hi:[1,0,1]
	s_movk_i32 s7, 0x625
	ds_write_b64 v67, v[0:1] offset:800
	v_mul_u32_u24_sdwa v0, v144, s7 dst_sel:DWORD dst_unused:UNUSED_PAD src0_sel:WORD_0 src1_sel:DWORD
	v_sub_u16_sdwa v1, v144, v0 dst_sel:DWORD dst_unused:UNUSED_PAD src0_sel:DWORD src1_sel:WORD_1
	v_lshrrev_b16_e32 v1, 1, v1
	v_add_u16_sdwa v0, v1, v0 dst_sel:DWORD dst_unused:UNUSED_PAD src0_sel:DWORD src1_sel:WORD_1
	v_lshrrev_b16_e32 v0, 6, v0
	v_pk_fma_f32 v[2:3], v[6:7], s[8:9], v[2:3] op_sel:[1,0,0] op_sel_hi:[0,0,1]
	v_pk_fma_f32 v[6:7], v[6:7], s[8:9], v[12:13] op_sel:[1,0,0] op_sel_hi:[0,0,1] neg_lo:[1,0,0] neg_hi:[1,0,0]
	v_mul_lo_u16_e32 v0, 0x7d, v0
	v_mov_b32_e32 v10, v6
	v_mov_b32_e32 v11, v3
	;; [unrolled: 1-line block ×3, first 2 shown]
	v_sub_u16_e32 v23, v144, v0
	v_pk_fma_f32 v[6:7], v[4:5], s[2:3], v[10:11] op_sel_hi:[1,0,1]
	v_pk_fma_f32 v[2:3], v[4:5], s[2:3], v[2:3] op_sel_hi:[1,0,1]
	v_lshlrev_b16_e32 v0, 5, v23
	v_mov_b32_e32 v1, v209
	ds_write2_b64 v67, v[2:3], v[6:7] offset0:50 offset1:75
	v_lshl_add_u64 v[6:7], s[10:11], 0, v[0:1]
	s_waitcnt lgkmcnt(0)
	s_barrier
	global_load_dwordx4 v[56:59], v102, s[10:11] offset:976
	global_load_dwordx4 v[52:55], v102, s[10:11] offset:960
	global_load_dwordx4 v[68:71], v[6:7], off offset:960
	global_load_dwordx4 v[112:115], v[6:7], off offset:976
	ds_read2_b64 v[0:3], v181 offset0:86 offset1:211
	v_mov_b32_e32 v99, v137
	s_waitcnt vmcnt(3) lgkmcnt(0)
	v_pk_mul_f32 v[8:9], v[2:3], v[56:57] op_sel:[0,1]
	s_nop 0
	v_pk_fma_f32 v[130:131], v[2:3], v[56:57], v[8:9] op_sel:[0,0,1] op_sel_hi:[1,1,0] neg_lo:[0,0,1] neg_hi:[0,0,1]
	s_waitcnt vmcnt(1)
	v_mov_b32_e32 v4, v71
	v_pk_fma_f32 v[140:141], v[2:3], v[56:57], v[8:9] op_sel:[0,0,1] op_sel_hi:[1,0,0]
	v_pk_mul_f32 v[2:3], v[0:1], v[4:5] op_sel_hi:[1,0]
	v_mov_b32_e32 v250, v55
	v_pk_fma_f32 v[108:109], v[0:1], v[70:71], v[2:3] op_sel:[0,0,1] op_sel_hi:[1,1,0] neg_lo:[0,0,1] neg_hi:[0,0,1]
	v_pk_fma_f32 v[122:123], v[0:1], v[70:71], v[2:3] op_sel:[0,0,1] op_sel_hi:[1,0,0]
	v_mul_u32_u24_sdwa v0, v136, s7 dst_sel:DWORD dst_unused:UNUSED_PAD src0_sel:WORD_0 src1_sel:DWORD
	v_sub_u16_sdwa v1, v136, v0 dst_sel:DWORD dst_unused:UNUSED_PAD src0_sel:DWORD src1_sel:WORD_1
	v_lshrrev_b16_e32 v1, 1, v1
	v_add_u16_sdwa v0, v1, v0 dst_sel:DWORD dst_unused:UNUSED_PAD src0_sel:DWORD src1_sel:WORD_1
	v_lshrrev_b16_e32 v0, 6, v0
	v_mul_lo_u16_e32 v0, 0x7d, v0
	v_sub_u16_e32 v22, v136, v0
	v_lshlrev_b16_e32 v0, 5, v22
	v_mov_b32_e32 v1, v209
	v_lshl_add_u64 v[6:7], s[10:11], 0, v[0:1]
	ds_read2_b64 v[0:3], v205 offset0:104 offset1:229
	global_load_dwordx4 v[88:91], v[6:7], off offset:960
	global_load_dwordx4 v[104:107], v[6:7], off offset:976
	ds_read2_b64 v[92:95], v202 offset0:74 offset1:199
	ds_read2_b64 v[148:151], v203 offset0:92 offset1:217
	v_mov_b32_e32 v34, v59
	s_waitcnt lgkmcnt(2)
	v_pk_mul_f32 v[8:9], v[2:3], v[68:69] op_sel:[0,1]
	v_mov_b32_e32 v131, v141
	v_pk_fma_f32 v[110:111], v[2:3], v[68:69], v[8:9] op_sel:[0,0,1] op_sel_hi:[1,1,0] neg_lo:[0,0,1] neg_hi:[0,0,1]
	v_pk_fma_f32 v[124:125], v[2:3], v[68:69], v[8:9] op_sel:[0,0,1] op_sel_hi:[1,0,0]
	v_mov_b32_e32 v109, v123
	v_mov_b32_e32 v111, v125
	v_accvgpr_write_b32 a76, v71
	v_lshlrev_b32_e32 v71, 3, v23
	v_add_u32_e32 v83, 0x4c00, v71
	s_waitcnt vmcnt(2)
	v_accvgpr_write_b32 a116, v115
	s_waitcnt vmcnt(1)
	v_pk_mul_f32 v[2:3], v[0:1], v[88:89] op_sel:[0,1]
	s_nop 0
	v_pk_fma_f32 v[132:133], v[0:1], v[88:89], v[2:3] op_sel:[0,0,1] op_sel_hi:[1,1,0] neg_lo:[0,0,1] neg_hi:[0,0,1]
	v_pk_fma_f32 v[134:135], v[0:1], v[88:89], v[2:3] op_sel:[0,0,1] op_sel_hi:[1,0,0]
	s_waitcnt lgkmcnt(1)
	v_pk_mul_f32 v[0:1], v[94:95], v[112:113] op_sel:[0,1]
	s_waitcnt vmcnt(0)
	v_pk_mul_f32 v[2:3], v[92:93], v[104:105] op_sel:[0,1]
	v_pk_fma_f32 v[120:121], v[94:95], v[112:113], v[0:1] op_sel:[0,0,1] op_sel_hi:[1,1,0] neg_lo:[0,0,1] neg_hi:[0,0,1]
	v_pk_fma_f32 v[126:127], v[94:95], v[112:113], v[0:1] op_sel:[0,0,1] op_sel_hi:[1,0,0]
	v_pk_fma_f32 v[0:1], v[92:93], v[104:105], v[2:3] op_sel:[0,0,1] op_sel_hi:[1,1,0] neg_lo:[0,0,1] neg_hi:[0,0,1]
	v_pk_fma_f32 v[142:143], v[92:93], v[104:105], v[2:3] op_sel:[0,0,1] op_sel_hi:[1,0,0]
	v_mul_u32_u24_sdwa v1, v128, s7 dst_sel:DWORD dst_unused:UNUSED_PAD src0_sel:WORD_0 src1_sel:DWORD
	v_sub_u16_sdwa v2, v128, v1 dst_sel:DWORD dst_unused:UNUSED_PAD src0_sel:DWORD src1_sel:WORD_1
	v_lshrrev_b16_e32 v2, 1, v2
	v_add_u16_sdwa v1, v2, v1 dst_sel:DWORD dst_unused:UNUSED_PAD src0_sel:DWORD src1_sel:WORD_1
	v_lshrrev_b16_e32 v1, 6, v1
	v_mul_lo_u16_e32 v1, 0x7d, v1
	v_sub_u16_e32 v1, v128, v1
	v_lshlrev_b16_e32 v2, 5, v1
	v_mov_b32_e32 v3, v209
	v_lshl_add_u64 v[2:3], s[10:11], 0, v[2:3]
	global_load_dwordx4 v[92:95], v[2:3], off offset:960
	global_load_dwordx4 v[116:119], v[2:3], off offset:976
	v_mov_b32_e32 v4, v91
	s_waitcnt lgkmcnt(0)
	v_pk_mul_f32 v[6:7], v[150:151], v[4:5] op_sel_hi:[1,0]
	v_accvgpr_write_b32 a104, v107
	v_pk_fma_f32 v[138:139], v[150:151], v[90:91], v[6:7] op_sel:[0,0,1] op_sel_hi:[1,1,0] neg_lo:[0,0,1] neg_hi:[0,0,1]
	v_pk_fma_f32 v[146:147], v[150:151], v[90:91], v[6:7] op_sel:[0,0,1] op_sel_hi:[1,0,0]
	v_mov_b32_e32 v133, v135
	v_mov_b32_e32 v139, v147
	v_accvgpr_write_b32 a82, v91
	v_mov_b32_e32 v121, v127
	s_waitcnt vmcnt(1)
	v_mov_b32_e32 v4, v95
	v_pk_mul_f32 v[2:3], v[148:149], v[4:5] op_sel_hi:[1,0]
	s_waitcnt vmcnt(0)
	v_mov_b32_e32 v4, v119
	v_pk_fma_f32 v[6:7], v[148:149], v[94:95], v[2:3] op_sel:[0,0,1] op_sel_hi:[1,1,0] neg_lo:[0,0,1] neg_hi:[0,0,1]
	v_pk_fma_f32 v[16:17], v[148:149], v[94:95], v[2:3] op_sel:[0,0,1] op_sel_hi:[1,0,0]
	ds_read2_b64 v[148:151], v145 offset0:62 offset1:187
	v_mov_b32_e32 v2, v107
	v_mov_b32_e32 v7, v17
	v_accvgpr_write_b32 a88, v95
	v_add_u32_e32 v95, 0x5400, v71
	s_waitcnt lgkmcnt(0)
	v_pk_mul_f32 v[10:11], v[150:151], v[2:3] op_sel_hi:[1,0]
	v_pk_mul_f32 v[12:13], v[148:149], v[4:5] op_sel_hi:[1,0]
	v_pk_fma_f32 v[2:3], v[150:151], v[106:107], v[10:11] op_sel:[0,0,1] op_sel_hi:[1,1,0] neg_lo:[0,0,1] neg_hi:[0,0,1]
	v_pk_fma_f32 v[20:21], v[150:151], v[106:107], v[10:11] op_sel:[0,0,1] op_sel_hi:[1,0,0]
	v_pk_fma_f32 v[14:15], v[148:149], v[118:119], v[12:13] op_sel:[0,0,1] op_sel_hi:[1,1,0] neg_lo:[0,0,1] neg_hi:[0,0,1]
	v_pk_fma_f32 v[12:13], v[148:149], v[118:119], v[12:13] op_sel:[0,0,1] op_sel_hi:[1,0,0]
	ds_read2_b64 v[148:151], v207 offset0:110 offset1:235
	v_mov_b32_e32 v107, v222
	v_mov_b32_e32 v15, v13
	;; [unrolled: 1-line block ×3, first 2 shown]
	s_waitcnt lgkmcnt(0)
	v_pk_mul_f32 v[152:153], v[150:151], v[92:93] op_sel:[0,1]
	s_nop 0
	v_pk_fma_f32 v[154:155], v[150:151], v[92:93], v[152:153] op_sel:[0,0,1] op_sel_hi:[1,1,0] neg_lo:[0,0,1] neg_hi:[0,0,1]
	v_pk_fma_f32 v[162:163], v[150:151], v[92:93], v[152:153] op_sel:[0,0,1] op_sel_hi:[1,0,0]
	v_pk_mul_f32 v[150:151], v[148:149], v[52:53] op_sel:[0,1]
	v_mov_b32_e32 v155, v163
	v_pk_fma_f32 v[164:165], v[148:149], v[52:53], v[150:151] op_sel:[0,0,1] op_sel_hi:[1,1,0] neg_lo:[0,0,1] neg_hi:[0,0,1]
	v_pk_fma_f32 v[224:225], v[148:149], v[52:53], v[150:151] op_sel:[0,0,1] op_sel_hi:[1,0,0]
	ds_read2_b64 v[148:151], v223 offset0:98 offset1:223
	v_mov_b32_e32 v165, v225
	v_pk_add_f32 v[12:13], v[154:155], v[14:15] neg_lo:[0,1] neg_hi:[0,1]
	s_waitcnt lgkmcnt(0)
	v_pk_mul_f32 v[152:153], v[148:149], v[250:251] op_sel_hi:[1,0]
	s_nop 0
	v_pk_fma_f32 v[230:231], v[148:149], v[54:55], v[152:153] op_sel:[0,0,1] op_sel_hi:[1,1,0] neg_lo:[0,0,1] neg_hi:[0,0,1]
	v_pk_fma_f32 v[152:153], v[148:149], v[54:55], v[152:153] op_sel:[0,0,1] op_sel_hi:[1,0,0]
	v_pk_mul_f32 v[148:149], v[150:151], v[250:251] op_sel_hi:[1,0]
	v_mov_b32_e32 v231, v153
	v_pk_fma_f32 v[234:235], v[150:151], v[54:55], v[148:149] op_sel:[0,0,1] op_sel_hi:[1,1,0] neg_lo:[0,0,1] neg_hi:[0,0,1]
	v_pk_fma_f32 v[236:237], v[150:151], v[54:55], v[148:149] op_sel:[0,0,1] op_sel_hi:[1,0,0]
	ds_read2_b64 v[148:151], v137 offset0:80 offset1:205
	v_pk_add_f32 v[226:227], v[230:231], v[130:131] neg_lo:[0,1] neg_hi:[0,1]
	v_mov_b32_e32 v235, v237
	v_lshlrev_b32_e32 v55, 3, v1
	v_add_u32_e32 v1, 0x2400, v55
	s_waitcnt lgkmcnt(0)
	v_pk_mul_f32 v[158:159], v[150:151], v[116:117] op_sel:[0,1]
	v_accvgpr_write_b32 a53, v1
	v_pk_fma_f32 v[238:239], v[150:151], v[116:117], v[158:159] op_sel:[0,0,1] op_sel_hi:[1,1,0] neg_lo:[0,0,1] neg_hi:[0,0,1]
	v_pk_fma_f32 v[240:241], v[150:151], v[116:117], v[158:159] op_sel:[0,0,1] op_sel_hi:[1,0,0]
	v_pk_mul_f32 v[150:151], v[148:149], v[56:57] op_sel:[0,1]
	v_mov_b32_e32 v239, v241
	v_pk_fma_f32 v[242:243], v[148:149], v[56:57], v[150:151] op_sel:[0,0,1] op_sel_hi:[1,1,0] neg_lo:[0,0,1] neg_hi:[0,0,1]
	v_pk_fma_f32 v[244:245], v[148:149], v[56:57], v[150:151] op_sel:[0,0,1] op_sel_hi:[1,0,0]
	ds_read2_b64 v[148:151], v222 offset0:68 offset1:193
	v_mov_b32_e32 v243, v245
	v_add_u32_e32 v75, 0x2c00, v55
	s_waitcnt lgkmcnt(0)
	v_pk_mul_f32 v[158:159], v[148:149], v[34:35] op_sel_hi:[1,0]
	s_nop 0
	v_pk_fma_f32 v[246:247], v[148:149], v[58:59], v[158:159] op_sel:[0,0,1] op_sel_hi:[1,1,0] neg_lo:[0,0,1] neg_hi:[0,0,1]
	v_pk_fma_f32 v[158:159], v[148:149], v[58:59], v[158:159] op_sel:[0,0,1] op_sel_hi:[1,0,0]
	v_pk_mul_f32 v[148:149], v[150:151], v[34:35] op_sel_hi:[1,0]
	v_mov_b32_e32 v247, v159
	v_pk_fma_f32 v[248:249], v[150:151], v[58:59], v[148:149] op_sel:[0,0,1] op_sel_hi:[1,1,0] neg_lo:[0,0,1] neg_hi:[0,0,1]
	v_pk_fma_f32 v[252:253], v[150:151], v[58:59], v[148:149] op_sel:[0,0,1] op_sel_hi:[1,0,0]
	ds_read2_b64 v[148:151], v129 offset0:116 offset1:241
	v_pk_add_f32 v[158:159], v[230:231], v[130:131]
	v_mov_b32_e32 v249, v253
	v_lshlrev_b32_e32 v59, 3, v22
	v_add_u32_e32 v87, 0x3800, v59
	s_waitcnt lgkmcnt(0)
	v_pk_mul_f32 v[160:161], v[150:151], v[52:53] op_sel:[0,1]
	v_add_u32_e32 v91, 0x4000, v59
	v_pk_fma_f32 v[254:255], v[150:151], v[52:53], v[160:161] op_sel:[0,0,1] op_sel_hi:[1,1,0] neg_lo:[0,0,1] neg_hi:[0,0,1]
	v_pk_fma_f32 v[150:151], v[150:151], v[52:53], v[160:161] op_sel:[0,0,1] op_sel_hi:[1,0,0]
	s_nop 0
	v_mov_b32_e32 v255, v151
	v_pk_add_f32 v[140:141], v[254:255], v[230:231] neg_lo:[0,1] neg_hi:[0,1]
	v_pk_add_f32 v[150:151], v[246:247], v[130:131] neg_lo:[0,1] neg_hi:[0,1]
	;; [unrolled: 1-line block ×3, first 2 shown]
	v_pk_add_f32 v[140:141], v[140:141], v[150:151]
	ds_read2_b64 v[150:153], v208 offset1:125
	v_pk_mul_f32 v[160:161], v[4:5], s[6:7] op_sel_hi:[1,0]
	v_pk_mul_f32 v[4:5], v[4:5], s[8:9] op_sel_hi:[1,0]
	s_waitcnt lgkmcnt(0)
	v_pk_fma_f32 v[158:159], v[158:159], 0.5, v[150:151] op_sel_hi:[1,0,1] neg_lo:[1,0,0] neg_hi:[1,0,0]
	s_nop 0
	v_pk_add_f32 v[232:233], v[158:159], v[160:161] op_sel:[0,1] op_sel_hi:[1,0]
	v_pk_add_f32 v[158:159], v[158:159], v[160:161] op_sel:[0,1] op_sel_hi:[1,0] neg_lo:[0,1] neg_hi:[0,1]
	v_pk_mul_f32 v[160:161], v[226:227], s[8:9] op_sel_hi:[1,0]
	s_nop 0
	v_pk_add_f32 v[222:223], v[158:159], v[160:161] op_sel:[0,1] op_sel_hi:[1,0] neg_lo:[0,1] neg_hi:[0,1]
	v_pk_add_f32 v[158:159], v[150:151], v[254:255]
	v_pk_add_f32 v[232:233], v[232:233], v[160:161] op_sel:[0,1] op_sel_hi:[1,0]
	v_pk_add_f32 v[158:159], v[158:159], v[230:231]
	s_nop 0
	v_pk_add_f32 v[158:159], v[158:159], v[130:131]
	v_pk_add_f32 v[130:131], v[130:131], v[246:247] neg_lo:[0,1] neg_hi:[0,1]
	v_pk_add_f32 v[8:9], v[158:159], v[246:247]
	v_mov_b32_e32 v158, v232
	v_mov_b32_e32 v159, v223
	v_pk_fma_f32 v[18:19], v[140:141], s[2:3], v[158:159] op_sel_hi:[1,0,1]
	ds_read_b64 v[10:11], v208 offset:24000
	ds_read2_b64 v[158:161], v206 offset0:122 offset1:247
	s_waitcnt lgkmcnt(0)
	s_barrier
	ds_write2_b64 v208, v[8:9], v[18:19] offset1:125
	v_pk_add_f32 v[8:9], v[230:231], v[254:255] neg_lo:[0,1] neg_hi:[0,1]
	v_pk_add_f32 v[18:19], v[254:255], v[246:247]
	v_pk_add_f32 v[8:9], v[8:9], v[130:131]
	v_pk_fma_f32 v[18:19], v[18:19], 0.5, v[150:151] op_sel_hi:[1,0,1] neg_lo:[1,0,0] neg_hi:[1,0,0]
	v_pk_mul_f32 v[130:131], v[226:227], s[6:7] op_sel_hi:[1,0]
	v_mov_b32_e32 v223, v233
	v_pk_add_f32 v[150:151], v[18:19], v[130:131] op_sel:[0,1] op_sel_hi:[1,0] neg_lo:[0,1] neg_hi:[0,1]
	v_pk_add_f32 v[18:19], v[18:19], v[130:131] op_sel:[0,1] op_sel_hi:[1,0]
	v_pk_add_f32 v[20:21], v[160:161], v[132:133]
	v_pk_add_f32 v[18:19], v[18:19], v[4:5] op_sel:[0,1] op_sel_hi:[1,0] neg_lo:[0,1] neg_hi:[0,1]
	v_pk_add_f32 v[4:5], v[150:151], v[4:5] op_sel:[0,1] op_sel_hi:[1,0]
	v_mov_b32_e32 v131, v19
	v_mov_b32_e32 v130, v4
	;; [unrolled: 1-line block ×3, first 2 shown]
	v_pk_fma_f32 v[4:5], v[8:9], s[2:3], v[130:131] op_sel_hi:[1,0,1]
	v_pk_fma_f32 v[8:9], v[8:9], s[2:3], v[18:19] op_sel_hi:[1,0,1]
	ds_write2_b64 v206, v[4:5], v[8:9] offset0:122 offset1:247
	v_pk_add_f32 v[8:9], v[152:153], v[164:165]
	v_pk_fma_f32 v[4:5], v[140:141], s[2:3], v[222:223] op_sel_hi:[1,0,1]
	v_pk_add_f32 v[8:9], v[8:9], v[234:235]
	v_pk_add_f32 v[18:19], v[164:165], v[234:235] neg_lo:[0,1] neg_hi:[0,1]
	v_pk_add_f32 v[8:9], v[8:9], v[242:243]
	v_pk_add_f32 v[130:131], v[248:249], v[242:243] neg_lo:[0,1] neg_hi:[0,1]
	v_pk_add_f32 v[8:9], v[8:9], v[248:249]
	ds_write2_b64 v129, v[4:5], v[8:9] offset0:116 offset1:241
	v_pk_add_f32 v[4:5], v[234:235], v[242:243]
	v_pk_add_f32 v[8:9], v[164:165], v[248:249]
	v_pk_fma_f32 v[4:5], v[4:5], 0.5, v[152:153] op_sel_hi:[1,0,1] neg_lo:[1,0,0] neg_hi:[1,0,0]
	v_pk_fma_f32 v[8:9], v[8:9], 0.5, v[152:153] op_sel_hi:[1,0,1] neg_lo:[1,0,0] neg_hi:[1,0,0]
	v_pk_add_f32 v[18:19], v[18:19], v[130:131]
	v_pk_add_f32 v[130:131], v[164:165], v[248:249] neg_lo:[0,1] neg_hi:[0,1]
	v_pk_add_f32 v[140:141], v[234:235], v[164:165] neg_lo:[0,1] neg_hi:[0,1]
	;; [unrolled: 1-line block ×4, first 2 shown]
	v_pk_fma_f32 v[164:165], v[150:151], s[6:7], v[8:9] op_sel:[1,0,0] op_sel_hi:[0,0,1]
	v_pk_add_f32 v[140:141], v[140:141], v[152:153]
	v_pk_fma_f32 v[152:153], v[130:131], s[6:7], v[4:5] op_sel:[1,0,0] op_sel_hi:[0,0,1] neg_lo:[1,0,0] neg_hi:[1,0,0]
	v_pk_fma_f32 v[4:5], v[130:131], s[6:7], v[4:5] op_sel:[1,0,0] op_sel_hi:[0,0,1]
	v_pk_fma_f32 v[8:9], v[150:151], s[6:7], v[8:9] op_sel:[1,0,0] op_sel_hi:[0,0,1] neg_lo:[1,0,0] neg_hi:[1,0,0]
	v_pk_fma_f32 v[4:5], v[150:151], s[8:9], v[4:5] op_sel:[1,0,0] op_sel_hi:[0,0,1]
	;; [unrolled: 2-line block ×3, first 2 shown]
	v_pk_fma_f32 v[130:131], v[130:131], s[8:9], v[164:165] op_sel:[1,0,0] op_sel_hi:[0,0,1] neg_lo:[1,0,0] neg_hi:[1,0,0]
	v_mov_b32_e32 v151, v5
	v_mov_b32_e32 v5, v153
	;; [unrolled: 1-line block ×4, first 2 shown]
	v_pk_fma_f32 v[4:5], v[18:19], s[2:3], v[4:5] op_sel_hi:[1,0,1]
	v_pk_fma_f32 v[8:9], v[140:141], s[2:3], v[8:9] op_sel_hi:[1,0,1]
	v_mov_b32_e32 v150, v152
	v_mov_b32_e32 v152, v130
	ds_write2_b64 v207, v[4:5], v[8:9] offset0:110 offset1:235
	v_pk_fma_f32 v[4:5], v[18:19], s[2:3], v[150:151] op_sel_hi:[1,0,1]
	v_pk_fma_f32 v[8:9], v[140:141], s[2:3], v[152:153] op_sel_hi:[1,0,1]
	ds_write2_b64 v205, v[8:9], v[4:5] offset0:104 offset1:229
	v_pk_add_f32 v[4:5], v[154:155], v[6:7] neg_lo:[0,1] neg_hi:[0,1]
	v_pk_add_f32 v[8:9], v[14:15], v[238:239] neg_lo:[0,1] neg_hi:[0,1]
	;; [unrolled: 1-line block ×3, first 2 shown]
	v_pk_add_f32 v[4:5], v[4:5], v[8:9]
	v_pk_add_f32 v[8:9], v[6:7], v[238:239]
	;; [unrolled: 1-line block ×3, first 2 shown]
	v_pk_fma_f32 v[8:9], v[8:9], 0.5, v[158:159] op_sel_hi:[1,0,1] neg_lo:[1,0,0] neg_hi:[1,0,0]
	v_pk_add_f32 v[130:131], v[130:131], v[6:7]
	v_pk_fma_f32 v[16:17], v[12:13], s[6:7], v[8:9] op_sel:[1,0,0] op_sel_hi:[0,0,1] neg_lo:[1,0,0] neg_hi:[1,0,0]
	v_pk_fma_f32 v[8:9], v[12:13], s[6:7], v[8:9] op_sel:[1,0,0] op_sel_hi:[0,0,1]
	v_pk_fma_f32 v[8:9], v[18:19], s[8:9], v[8:9] op_sel:[1,0,0] op_sel_hi:[0,0,1]
	v_pk_fma_f32 v[16:17], v[18:19], s[8:9], v[16:17] op_sel:[1,0,0] op_sel_hi:[0,0,1] neg_lo:[1,0,0] neg_hi:[1,0,0]
	v_pk_add_f32 v[130:131], v[130:131], v[238:239]
	v_mov_b32_e32 v141, v9
	v_mov_b32_e32 v9, v17
	v_pk_add_f32 v[130:131], v[130:131], v[14:15]
	v_pk_fma_f32 v[8:9], v[4:5], s[2:3], v[8:9] op_sel_hi:[1,0,1]
	ds_write2_b64 v1, v[130:131], v[8:9] offset0:98 offset1:223
	v_pk_add_f32 v[8:9], v[154:155], v[14:15]
	v_pk_add_f32 v[6:7], v[6:7], v[154:155] neg_lo:[0,1] neg_hi:[0,1]
	v_pk_add_f32 v[14:15], v[238:239], v[14:15] neg_lo:[0,1] neg_hi:[0,1]
	v_pk_fma_f32 v[8:9], v[8:9], 0.5, v[158:159] op_sel_hi:[1,0,1] neg_lo:[1,0,0] neg_hi:[1,0,0]
	v_pk_add_f32 v[6:7], v[6:7], v[14:15]
	v_pk_fma_f32 v[14:15], v[18:19], s[6:7], v[8:9] op_sel:[1,0,0] op_sel_hi:[0,0,1]
	v_pk_fma_f32 v[8:9], v[18:19], s[6:7], v[8:9] op_sel:[1,0,0] op_sel_hi:[0,0,1] neg_lo:[1,0,0] neg_hi:[1,0,0]
	v_pk_fma_f32 v[8:9], v[12:13], s[8:9], v[8:9] op_sel:[1,0,0] op_sel_hi:[0,0,1]
	v_pk_fma_f32 v[12:13], v[12:13], s[8:9], v[14:15] op_sel:[1,0,0] op_sel_hi:[0,0,1] neg_lo:[1,0,0] neg_hi:[1,0,0]
	v_mov_b32_e32 v14, v12
	v_mov_b32_e32 v15, v9
	;; [unrolled: 1-line block ×3, first 2 shown]
	v_pk_fma_f32 v[12:13], v[6:7], s[2:3], v[14:15] op_sel_hi:[1,0,1]
	v_pk_fma_f32 v[6:7], v[6:7], s[2:3], v[8:9] op_sel_hi:[1,0,1]
	v_mov_b32_e32 v1, v143
	ds_write2_b64 v75, v[6:7], v[12:13] offset0:92 offset1:217
	v_pk_add_f32 v[6:7], v[132:133], v[138:139] neg_lo:[0,1] neg_hi:[0,1]
	v_pk_add_f32 v[8:9], v[2:3], v[0:1] neg_lo:[0,1] neg_hi:[0,1]
	;; [unrolled: 1-line block ×3, first 2 shown]
	v_pk_add_f32 v[6:7], v[6:7], v[8:9]
	v_pk_add_f32 v[8:9], v[138:139], v[0:1]
	v_pk_add_f32 v[18:19], v[138:139], v[0:1] neg_lo:[0,1] neg_hi:[0,1]
	v_pk_fma_f32 v[8:9], v[8:9], 0.5, v[160:161] op_sel_hi:[1,0,1] neg_lo:[1,0,0] neg_hi:[1,0,0]
	v_pk_add_f32 v[20:21], v[20:21], v[138:139]
	v_pk_fma_f32 v[14:15], v[12:13], s[6:7], v[8:9] op_sel:[1,0,0] op_sel_hi:[0,0,1] neg_lo:[1,0,0] neg_hi:[1,0,0]
	v_pk_fma_f32 v[8:9], v[12:13], s[6:7], v[8:9] op_sel:[1,0,0] op_sel_hi:[0,0,1]
	v_pk_fma_f32 v[8:9], v[18:19], s[8:9], v[8:9] op_sel:[1,0,0] op_sel_hi:[0,0,1]
	v_pk_fma_f32 v[14:15], v[18:19], s[8:9], v[14:15] op_sel:[1,0,0] op_sel_hi:[0,0,1] neg_lo:[1,0,0] neg_hi:[1,0,0]
	v_pk_add_f32 v[20:21], v[20:21], v[0:1]
	v_mov_b32_e32 v131, v9
	v_mov_b32_e32 v9, v15
	v_pk_add_f32 v[20:21], v[20:21], v[2:3]
	v_pk_fma_f32 v[8:9], v[6:7], s[2:3], v[8:9] op_sel_hi:[1,0,1]
	ds_write2_b64 v87, v[20:21], v[8:9] offset0:83 offset1:208
	v_pk_add_f32 v[8:9], v[132:133], v[2:3]
	v_pk_add_f32 v[0:1], v[0:1], v[2:3] neg_lo:[0,1] neg_hi:[0,1]
	v_pk_fma_f32 v[8:9], v[8:9], 0.5, v[160:161] op_sel_hi:[1,0,1] neg_lo:[1,0,0] neg_hi:[1,0,0]
	v_pk_add_f32 v[20:21], v[138:139], v[132:133] neg_lo:[0,1] neg_hi:[0,1]
	v_pk_fma_f32 v[2:3], v[18:19], s[6:7], v[8:9] op_sel:[1,0,0] op_sel_hi:[0,0,1]
	v_pk_fma_f32 v[8:9], v[18:19], s[6:7], v[8:9] op_sel:[1,0,0] op_sel_hi:[0,0,1] neg_lo:[1,0,0] neg_hi:[1,0,0]
	v_pk_fma_f32 v[8:9], v[12:13], s[8:9], v[8:9] op_sel:[1,0,0] op_sel_hi:[0,0,1]
	v_pk_fma_f32 v[2:3], v[12:13], s[8:9], v[2:3] op_sel:[1,0,0] op_sel_hi:[0,0,1] neg_lo:[1,0,0] neg_hi:[1,0,0]
	v_pk_add_f32 v[0:1], v[20:21], v[0:1]
	v_mov_b32_e32 v12, v2
	v_mov_b32_e32 v13, v9
	;; [unrolled: 1-line block ×3, first 2 shown]
	v_pk_fma_f32 v[2:3], v[0:1], s[2:3], v[12:13] op_sel_hi:[1,0,1]
	v_pk_fma_f32 v[0:1], v[0:1], s[2:3], v[8:9] op_sel_hi:[1,0,1]
	ds_write2_b64 v91, v[0:1], v[2:3] offset0:77 offset1:202
	v_mov_b32_e32 v2, v115
	v_pk_mul_f32 v[0:1], v[10:11], v[2:3] op_sel_hi:[1,0]
	v_pk_add_f32 v[18:19], v[108:109], v[120:121] neg_lo:[0,1] neg_hi:[0,1]
	v_pk_fma_f32 v[2:3], v[10:11], v[114:115], v[0:1] op_sel:[0,0,1] op_sel_hi:[1,1,0] neg_lo:[0,0,1] neg_hi:[0,0,1]
	v_pk_fma_f32 v[0:1], v[10:11], v[114:115], v[0:1] op_sel:[0,0,1] op_sel_hi:[1,0,0]
	v_pk_add_f32 v[20:21], v[148:149], v[110:111]
	v_mov_b32_e32 v3, v1
	v_pk_add_f32 v[0:1], v[110:111], v[108:109] neg_lo:[0,1] neg_hi:[0,1]
	v_pk_add_f32 v[8:9], v[2:3], v[120:121] neg_lo:[0,1] neg_hi:[0,1]
	;; [unrolled: 1-line block ×3, first 2 shown]
	v_pk_add_f32 v[0:1], v[0:1], v[8:9]
	v_pk_add_f32 v[8:9], v[108:109], v[120:121]
	;; [unrolled: 1-line block ×3, first 2 shown]
	v_pk_fma_f32 v[8:9], v[8:9], 0.5, v[148:149] op_sel_hi:[1,0,1] neg_lo:[1,0,0] neg_hi:[1,0,0]
	v_pk_add_f32 v[20:21], v[20:21], v[120:121]
	v_pk_fma_f32 v[12:13], v[10:11], s[6:7], v[8:9] op_sel:[1,0,0] op_sel_hi:[0,0,1] neg_lo:[1,0,0] neg_hi:[1,0,0]
	v_pk_fma_f32 v[8:9], v[10:11], s[6:7], v[8:9] op_sel:[1,0,0] op_sel_hi:[0,0,1]
	v_pk_fma_f32 v[8:9], v[18:19], s[8:9], v[8:9] op_sel:[1,0,0] op_sel_hi:[0,0,1]
	v_pk_fma_f32 v[12:13], v[18:19], s[8:9], v[12:13] op_sel:[1,0,0] op_sel_hi:[0,0,1] neg_lo:[1,0,0] neg_hi:[1,0,0]
	v_mov_b32_e32 v23, v9
	v_mov_b32_e32 v9, v13
	v_pk_add_f32 v[20:21], v[20:21], v[2:3]
	v_pk_fma_f32 v[8:9], v[0:1], s[2:3], v[8:9] op_sel_hi:[1,0,1]
	ds_write2_b64 v83, v[20:21], v[8:9] offset0:68 offset1:193
	v_pk_add_f32 v[8:9], v[110:111], v[2:3]
	v_pk_add_f32 v[20:21], v[108:109], v[110:111] neg_lo:[0,1] neg_hi:[0,1]
	v_pk_fma_f32 v[8:9], v[8:9], 0.5, v[148:149] op_sel_hi:[1,0,1] neg_lo:[1,0,0] neg_hi:[1,0,0]
	v_pk_add_f32 v[2:3], v[120:121], v[2:3] neg_lo:[0,1] neg_hi:[0,1]
	v_mov_b32_e32 v22, v12
	v_pk_add_f32 v[2:3], v[20:21], v[2:3]
	v_pk_fma_f32 v[20:21], v[18:19], s[6:7], v[8:9] op_sel:[1,0,0] op_sel_hi:[0,0,1]
	v_pk_fma_f32 v[8:9], v[18:19], s[6:7], v[8:9] op_sel:[1,0,0] op_sel_hi:[0,0,1] neg_lo:[1,0,0] neg_hi:[1,0,0]
	v_pk_fma_f32 v[8:9], v[10:11], s[8:9], v[8:9] op_sel:[1,0,0] op_sel_hi:[0,0,1]
	v_pk_fma_f32 v[10:11], v[10:11], s[8:9], v[20:21] op_sel:[1,0,0] op_sel_hi:[0,0,1] neg_lo:[1,0,0] neg_hi:[1,0,0]
	v_mov_b32_e32 v18, v10
	v_mov_b32_e32 v19, v9
	;; [unrolled: 1-line block ×4, first 2 shown]
	v_pk_fma_f32 v[10:11], v[2:3], s[2:3], v[18:19] op_sel_hi:[1,0,1]
	v_pk_fma_f32 v[2:3], v[2:3], s[2:3], v[8:9] op_sel_hi:[1,0,1]
	;; [unrolled: 1-line block ×3, first 2 shown]
	v_mov_b32_e32 v130, v14
	v_pk_fma_f32 v[4:5], v[4:5], s[2:3], v[140:141] op_sel_hi:[1,0,1]
	ds_write2_b64 v95, v[2:3], v[10:11] offset0:62 offset1:187
	v_pk_fma_f32 v[2:3], v[6:7], s[2:3], v[130:131] op_sel_hi:[1,0,1]
	ds_write_b64 v55, v[4:5] offset:14000
	ds_write_b64 v59, v[2:3] offset:19000
	;; [unrolled: 1-line block ×3, first 2 shown]
	v_lshl_add_u64 v[0:1], s[10:11], 0, v[102:103]
	v_add_co_u32_e32 v2, vcc, s3, v0
	v_lshlrev_b32_e32 v4, 5, v100
	v_mov_b32_e32 v5, v209
	v_addc_co_u32_e32 v3, vcc, 0, v1, vcc
	v_lshl_add_u64 v[4:5], s[10:11], 0, v[4:5]
	v_add_co_u32_e32 v6, vcc, s3, v4
	s_waitcnt lgkmcnt(0)
	s_barrier
	v_lshl_add_u64 v[0:1], v[0:1], 0, s[12:13]
	v_addc_co_u32_e32 v7, vcc, 0, v5, vcc
	global_load_dwordx4 v[108:111], v[2:3], off offset:864
	global_load_dwordx4 v[100:103], v[0:1], off offset:16
	v_lshl_add_u64 v[4:5], v[4:5], 0, s[12:13]
	ds_read2_b64 v[0:3], v24 offset0:98 offset1:223
	global_load_dwordx4 v[124:127], v[6:7], off offset:864
	global_load_dwordx4 v[120:123], v[4:5], off offset:16
	v_mov_b32_e32 v115, v24
	s_waitcnt vmcnt(3)
	v_mov_b32_e32 v10, v111
	s_waitcnt lgkmcnt(0)
	v_pk_mul_f32 v[8:9], v[0:1], v[10:11] op_sel_hi:[1,0]
	s_waitcnt vmcnt(2)
	v_accvgpr_write_b32 a102, v103
	s_waitcnt vmcnt(1)
	v_mov_b32_e32 v4, v127
	v_pk_fma_f32 v[236:237], v[0:1], v[110:111], v[8:9] op_sel:[0,0,1] op_sel_hi:[1,1,0] neg_lo:[0,0,1] neg_hi:[0,0,1]
	v_pk_fma_f32 v[14:15], v[0:1], v[110:111], v[8:9] op_sel:[0,0,1] op_sel_hi:[1,0,0]
	v_pk_mul_f32 v[0:1], v[2:3], v[4:5] op_sel_hi:[1,0]
	v_accvgpr_write_b32 a94, v111
	v_pk_fma_f32 v[224:225], v[2:3], v[126:127], v[0:1] op_sel:[0,0,1] op_sel_hi:[1,1,0] neg_lo:[0,0,1] neg_hi:[0,0,1]
	v_pk_fma_f32 v[4:5], v[2:3], v[126:127], v[0:1] op_sel:[0,0,1] op_sel_hi:[1,0,0]
	ds_read2_b64 v[0:3], v107 offset0:68 offset1:193
	v_mov_b32_e32 v4, v103
	v_mov_b32_e32 v111, v203
	;; [unrolled: 1-line block ×4, first 2 shown]
	s_waitcnt lgkmcnt(0)
	v_pk_mul_f32 v[6:7], v[0:1], v[4:5] op_sel_hi:[1,0]
	s_waitcnt vmcnt(0)
	v_mov_b32_e32 v4, v123
	v_pk_fma_f32 v[16:17], v[0:1], v[102:103], v[6:7] op_sel:[0,0,1] op_sel_hi:[1,1,0] neg_lo:[0,0,1] neg_hi:[0,0,1]
	v_pk_fma_f32 v[6:7], v[0:1], v[102:103], v[6:7] op_sel:[0,0,1] op_sel_hi:[1,0,0]
	v_pk_mul_f32 v[0:1], v[2:3], v[4:5] op_sel_hi:[1,0]
	v_mov_b32_e32 v103, v145
	v_pk_fma_f32 v[248:249], v[2:3], v[122:123], v[0:1] op_sel:[0,0,1] op_sel_hi:[1,1,0] neg_lo:[0,0,1] neg_hi:[0,0,1]
	v_pk_fma_f32 v[18:19], v[2:3], v[122:123], v[0:1] op_sel:[0,0,1] op_sel_hi:[1,0,0]
	v_lshlrev_b32_e32 v0, 5, v128
	v_mov_b32_e32 v1, v209
	v_lshl_add_u64 v[0:1], s[10:11], 0, v[0:1]
	v_add_co_u32_e32 v8, vcc, s3, v0
	v_lshl_add_u64 v[10:11], v[0:1], 0, s[12:13]
	s_nop 0
	v_addc_co_u32_e32 v9, vcc, 0, v1, vcc
	ds_read2_b64 v[0:3], v207 offset0:110 offset1:235
	global_load_dwordx4 v[132:135], v[8:9], off offset:864
	global_load_dwordx4 v[128:131], v[10:11], off offset:16
	v_mov_b32_e32 v17, v7
	v_mov_b32_e32 v249, v19
	v_accvgpr_write_b32 a100, v123
	s_waitcnt lgkmcnt(0)
	v_pk_mul_f32 v[12:13], v[0:1], v[124:125] op_sel:[0,1]
	v_mov_b32_e32 v123, v107
	v_pk_fma_f32 v[244:245], v[0:1], v[124:125], v[12:13] op_sel:[0,0,1] op_sel_hi:[1,1,0] neg_lo:[0,0,1] neg_hi:[0,0,1]
	v_pk_fma_f32 v[20:21], v[0:1], v[124:125], v[12:13] op_sel:[0,0,1] op_sel_hi:[1,0,0]
	v_accvgpr_write_b32 a96, v127
	v_mov_b32_e32 v245, v21
	v_mov_b32_e32 v127, v115
	s_waitcnt vmcnt(1)
	v_pk_mul_f32 v[0:1], v[2:3], v[132:133] op_sel:[0,1]
	s_nop 0
	v_pk_fma_f32 v[254:255], v[2:3], v[132:133], v[0:1] op_sel:[0,0,1] op_sel_hi:[1,1,0] neg_lo:[0,0,1] neg_hi:[0,0,1]
	v_pk_fma_f32 v[22:23], v[2:3], v[132:133], v[0:1] op_sel:[0,0,1] op_sel_hi:[1,0,0]
	ds_read2_b64 v[0:3], v137 offset0:80 offset1:205
	v_mov_b32_e32 v4, v135
	v_mov_b32_e32 v255, v23
	v_accvgpr_write_b32 a106, v135
	s_waitcnt vmcnt(0)
	v_accvgpr_write_b32 a112, v131
	s_waitcnt lgkmcnt(0)
	v_pk_mul_f32 v[8:9], v[0:1], v[120:121] op_sel:[0,1]
	s_nop 0
	v_pk_fma_f32 v[238:239], v[0:1], v[120:121], v[8:9] op_sel:[0,0,1] op_sel_hi:[1,1,0] neg_lo:[0,0,1] neg_hi:[0,0,1]
	v_pk_fma_f32 v[222:223], v[0:1], v[120:121], v[8:9] op_sel:[0,0,1] op_sel_hi:[1,0,0]
	v_pk_mul_f32 v[0:1], v[2:3], v[128:129] op_sel:[0,1]
	v_mov_b32_e32 v239, v223
	v_pk_fma_f32 v[246:247], v[2:3], v[128:129], v[0:1] op_sel:[0,0,1] op_sel_hi:[1,1,0] neg_lo:[0,0,1] neg_hi:[0,0,1]
	v_pk_fma_f32 v[226:227], v[2:3], v[128:129], v[0:1] op_sel:[0,0,1] op_sel_hi:[1,0,0]
	v_lshlrev_b32_e32 v0, 5, v136
	v_mov_b32_e32 v1, v209
	v_lshl_add_u64 v[0:1], s[10:11], 0, v[0:1]
	v_add_co_u32_e32 v8, vcc, s3, v0
	v_lshl_add_u64 v[10:11], v[0:1], 0, s[12:13]
	s_nop 0
	v_addc_co_u32_e32 v9, vcc, 0, v1, vcc
	ds_read2_b64 v[0:3], v203 offset0:92 offset1:217
	global_load_dwordx4 v[140:143], v[8:9], off offset:864
	global_load_dwordx4 v[136:139], v[10:11], off offset:16
	v_mov_b32_e32 v247, v227
	s_waitcnt lgkmcnt(0)
	v_pk_mul_f32 v[12:13], v[0:1], v[4:5] op_sel_hi:[1,0]
	s_nop 0
	v_pk_fma_f32 v[240:241], v[0:1], v[134:135], v[12:13] op_sel:[0,0,1] op_sel_hi:[1,1,0] neg_lo:[0,0,1] neg_hi:[0,0,1]
	v_pk_fma_f32 v[232:233], v[0:1], v[134:135], v[12:13] op_sel:[0,0,1] op_sel_hi:[1,0,0]
	v_accvgpr_read_b32 v135, a3
	v_mov_b32_e32 v241, v233
	s_waitcnt vmcnt(1)
	v_mov_b32_e32 v4, v143
	v_pk_mul_f32 v[0:1], v[2:3], v[4:5] op_sel_hi:[1,0]
	v_mov_b32_e32 v4, v131
	v_pk_fma_f32 v[158:159], v[2:3], v[142:143], v[0:1] op_sel:[0,0,1] op_sel_hi:[1,1,0] neg_lo:[0,0,1] neg_hi:[0,0,1]
	v_pk_fma_f32 v[230:231], v[2:3], v[142:143], v[0:1] op_sel:[0,0,1] op_sel_hi:[1,0,0]
	ds_read2_b64 v[0:3], v145 offset0:62 offset1:187
	v_accvgpr_write_b32 a108, v143
	v_accvgpr_read_b32 v143, a43
	v_mov_b32_e32 v159, v231
	s_waitcnt vmcnt(0)
	v_accvgpr_write_b32 a110, v139
	s_waitcnt lgkmcnt(0)
	v_pk_mul_f32 v[8:9], v[0:1], v[4:5] op_sel_hi:[1,0]
	v_mov_b32_e32 v4, v139
	v_pk_fma_f32 v[234:235], v[0:1], v[130:131], v[8:9] op_sel:[0,0,1] op_sel_hi:[1,1,0] neg_lo:[0,0,1] neg_hi:[0,0,1]
	v_pk_fma_f32 v[10:11], v[0:1], v[130:131], v[8:9] op_sel:[0,0,1] op_sel_hi:[1,0,0]
	v_pk_mul_f32 v[0:1], v[2:3], v[4:5] op_sel_hi:[1,0]
	v_mov_b32_e32 v235, v11
	v_pk_fma_f32 v[162:163], v[2:3], v[138:139], v[0:1] op_sel:[0,0,1] op_sel_hi:[1,1,0] neg_lo:[0,0,1] neg_hi:[0,0,1]
	v_pk_fma_f32 v[32:33], v[2:3], v[138:139], v[0:1] op_sel:[0,0,1] op_sel_hi:[1,0,0]
	v_lshlrev_b32_e32 v0, 5, v144
	v_mov_b32_e32 v1, v209
	v_lshl_add_u64 v[0:1], s[10:11], 0, v[0:1]
	v_add_co_u32_e32 v8, vcc, s3, v0
	v_lshl_add_u64 v[12:13], v[0:1], 0, s[12:13]
	s_nop 0
	v_addc_co_u32_e32 v9, vcc, 0, v1, vcc
	ds_read2_b64 v[0:3], v205 offset0:104 offset1:229
	global_load_dwordx4 v[148:151], v[8:9], off offset:864
	global_load_dwordx4 v[144:147], v[12:13], off offset:16
	ds_read2_b64 v[152:155], v181 offset0:86 offset1:211
	v_mov_b32_e32 v209, v202
	v_pk_add_f32 v[10:11], v[244:245], v[224:225] neg_lo:[0,1] neg_hi:[0,1]
	s_waitcnt lgkmcnt(1)
	v_pk_mul_f32 v[26:27], v[0:1], v[140:141] op_sel:[0,1]
	v_mov_b32_e32 v163, v33
	v_pk_fma_f32 v[164:165], v[0:1], v[140:141], v[26:27] op_sel:[0,0,1] op_sel_hi:[1,1,0] neg_lo:[0,0,1] neg_hi:[0,0,1]
	v_pk_fma_f32 v[26:27], v[0:1], v[140:141], v[26:27] op_sel:[0,0,1] op_sel_hi:[1,0,0]
	v_accvgpr_read_b32 v139, a42
	v_mov_b32_e32 v165, v27
	v_accvgpr_read_b32 v131, a1
	s_mov_b64 s[10:11], 0x61a8
	s_waitcnt vmcnt(1)
	v_pk_mul_f32 v[0:1], v[2:3], v[148:149] op_sel:[0,1]
	v_mov_b32_e32 v230, v151
	v_pk_fma_f32 v[252:253], v[2:3], v[148:149], v[0:1] op_sel:[0,0,1] op_sel_hi:[1,1,0] neg_lo:[0,0,1] neg_hi:[0,0,1]
	v_pk_fma_f32 v[28:29], v[2:3], v[148:149], v[0:1] op_sel:[0,0,1] op_sel_hi:[1,0,0]
	s_waitcnt lgkmcnt(0)
	v_pk_mul_f32 v[0:1], v[154:155], v[100:101] op_sel:[0,1]
	v_pk_mul_f32 v[2:3], v[152:153], v[230:231] op_sel_hi:[1,0]
	v_pk_fma_f32 v[228:229], v[154:155], v[100:101], v[0:1] op_sel:[0,0,1] op_sel_hi:[1,1,0] neg_lo:[0,0,1] neg_hi:[0,0,1]
	v_pk_fma_f32 v[0:1], v[154:155], v[100:101], v[0:1] op_sel:[0,0,1] op_sel_hi:[1,0,0]
	v_pk_fma_f32 v[160:161], v[152:153], v[150:151], v[2:3] op_sel:[0,0,1] op_sel_hi:[1,1,0] neg_lo:[0,0,1] neg_hi:[0,0,1]
	v_pk_fma_f32 v[24:25], v[152:153], v[150:151], v[2:3] op_sel:[0,0,1] op_sel_hi:[1,0,0]
	ds_read2_b64 v[152:155], v202 offset0:74 offset1:199
	v_mov_b32_e32 v229, v1
	v_pk_add_f32 v[6:7], v[236:237], v[228:229]
	v_mov_b32_e32 v253, v29
	v_mov_b32_e32 v161, v25
	s_waitcnt lgkmcnt(0)
	v_pk_mul_f32 v[2:3], v[152:153], v[136:137] op_sel:[0,1]
	v_mov_b32_e32 v151, v99
	v_pk_fma_f32 v[242:243], v[152:153], v[136:137], v[2:3] op_sel:[0,0,1] op_sel_hi:[1,1,0] neg_lo:[0,0,1] neg_hi:[0,0,1]
	v_pk_fma_f32 v[30:31], v[152:153], v[136:137], v[2:3] op_sel:[0,0,1] op_sel_hi:[1,0,0]
	s_waitcnt vmcnt(0)
	v_pk_mul_f32 v[2:3], v[154:155], v[144:145] op_sel:[0,1]
	v_mov_b32_e32 v243, v31
	v_pk_fma_f32 v[8:9], v[154:155], v[144:145], v[2:3] op_sel:[0,0,1] op_sel_hi:[1,1,0] neg_lo:[0,0,1] neg_hi:[0,0,1]
	v_pk_fma_f32 v[12:13], v[154:155], v[144:145], v[2:3] op_sel:[0,0,1] op_sel_hi:[1,0,0]
	ds_read2_b64 v[152:155], v79 offset0:116 offset1:241
	v_mov_b32_e32 v9, v13
	v_pk_add_f32 v[30:31], v[158:159], v[164:165] neg_lo:[0,1] neg_hi:[0,1]
	v_pk_add_f32 v[32:33], v[242:243], v[162:163] neg_lo:[0,1] neg_hi:[0,1]
	s_waitcnt lgkmcnt(0)
	v_pk_mul_f32 v[2:3], v[154:155], v[108:109] op_sel:[0,1]
	s_nop 0
	v_pk_fma_f32 v[202:203], v[154:155], v[108:109], v[2:3] op_sel:[0,0,1] op_sel_hi:[1,1,0] neg_lo:[0,0,1] neg_hi:[0,0,1]
	v_pk_fma_f32 v[2:3], v[154:155], v[108:109], v[2:3] op_sel:[0,0,1] op_sel_hi:[1,0,0]
	v_pk_add_f32 v[30:31], v[30:31], v[32:33]
	v_mov_b32_e32 v203, v3
	v_pk_add_f32 v[0:1], v[202:203], v[236:237] neg_lo:[0,1] neg_hi:[0,1]
	v_pk_add_f32 v[2:3], v[16:17], v[228:229] neg_lo:[0,1] neg_hi:[0,1]
	;; [unrolled: 1-line block ×3, first 2 shown]
	v_pk_add_f32 v[4:5], v[0:1], v[2:3]
	ds_read2_b64 v[0:3], v208 offset1:125
	v_pk_mul_f32 v[18:19], v[14:15], s[6:7] op_sel_hi:[1,0]
	v_pk_add_f32 v[222:223], v[236:237], v[202:203] neg_lo:[0,1] neg_hi:[0,1]
	v_pk_mul_f32 v[14:15], v[14:15], s[8:9] op_sel_hi:[1,0]
	s_waitcnt lgkmcnt(0)
	v_pk_fma_f32 v[6:7], v[6:7], 0.5, v[0:1] op_sel_hi:[1,0,1] neg_lo:[1,0,0] neg_hi:[1,0,0]
	s_nop 0
	v_pk_add_f32 v[20:21], v[6:7], v[18:19] op_sel:[0,1] op_sel_hi:[1,0]
	v_pk_add_f32 v[6:7], v[6:7], v[18:19] op_sel:[0,1] op_sel_hi:[1,0] neg_lo:[0,1] neg_hi:[0,1]
	v_pk_add_f32 v[18:19], v[236:237], v[228:229] neg_lo:[0,1] neg_hi:[0,1]
	s_nop 0
	v_pk_mul_f32 v[154:155], v[18:19], s[8:9] op_sel_hi:[1,0]
	v_pk_mul_f32 v[18:19], v[18:19], s[6:7] op_sel_hi:[1,0]
	v_pk_add_f32 v[6:7], v[6:7], v[154:155] op_sel:[0,1] op_sel_hi:[1,0] neg_lo:[0,1] neg_hi:[0,1]
	v_pk_add_f32 v[20:21], v[20:21], v[154:155] op_sel:[0,1] op_sel_hi:[1,0]
	v_mov_b32_e32 v155, v7
	v_mov_b32_e32 v154, v20
	v_pk_fma_f32 v[154:155], v[4:5], s[2:3], v[154:155] op_sel_hi:[1,0,1]
	ds_write_b64 v208, v[154:155] offset:5000
	v_pk_add_f32 v[154:155], v[0:1], v[202:203]
	v_pk_add_f32 v[202:203], v[202:203], v[16:17]
	;; [unrolled: 1-line block ×3, first 2 shown]
	v_pk_fma_f32 v[0:1], v[202:203], 0.5, v[0:1] op_sel_hi:[1,0,1] neg_lo:[1,0,0] neg_hi:[1,0,0]
	v_pk_add_f32 v[154:155], v[154:155], v[228:229]
	v_pk_add_f32 v[202:203], v[0:1], v[18:19] op_sel:[0,1] op_sel_hi:[1,0] neg_lo:[0,1] neg_hi:[0,1]
	v_pk_add_f32 v[0:1], v[0:1], v[18:19] op_sel:[0,1] op_sel_hi:[1,0]
	v_pk_add_f32 v[154:155], v[154:155], v[16:17]
	v_pk_add_f32 v[16:17], v[228:229], v[16:17] neg_lo:[0,1] neg_hi:[0,1]
	v_pk_add_f32 v[0:1], v[0:1], v[14:15] op_sel:[0,1] op_sel_hi:[1,0] neg_lo:[0,1] neg_hi:[0,1]
	v_pk_add_f32 v[14:15], v[202:203], v[14:15] op_sel:[0,1] op_sel_hi:[1,0]
	v_pk_add_f32 v[16:17], v[222:223], v[16:17]
	v_mov_b32_e32 v19, v1
	v_mov_b32_e32 v1, v15
	v_pk_fma_f32 v[0:1], v[16:17], s[2:3], v[0:1] op_sel_hi:[1,0,1]
	v_mov_b32_e32 v7, v21
	ds_write_b64 v208, v[0:1] offset:15000
	v_pk_fma_f32 v[0:1], v[4:5], s[2:3], v[6:7] op_sel_hi:[1,0,1]
	ds_write_b64 v208, v[0:1] offset:20000
	v_pk_add_f32 v[0:1], v[2:3], v[244:245]
	v_mov_b32_e32 v18, v14
	v_pk_add_f32 v[0:1], v[0:1], v[224:225]
	v_pk_fma_f32 v[18:19], v[16:17], s[2:3], v[18:19] op_sel_hi:[1,0,1]
	v_pk_add_f32 v[0:1], v[0:1], v[238:239]
	ds_write_b64 v208, v[18:19] offset:10000
	v_pk_add_f32 v[0:1], v[0:1], v[248:249]
	ds_read_b64 v[14:15], v208 offset:24000
	ds_read2_b64 v[4:7], v206 offset0:122 offset1:247
	ds_write2_b64 v208, v[154:155], v[0:1] offset1:125
	v_pk_add_f32 v[0:1], v[224:225], v[238:239]
	v_pk_add_f32 v[16:17], v[244:245], v[248:249]
	v_pk_fma_f32 v[0:1], v[0:1], 0.5, v[2:3] op_sel_hi:[1,0,1] neg_lo:[1,0,0] neg_hi:[1,0,0]
	v_pk_fma_f32 v[2:3], v[16:17], 0.5, v[2:3] op_sel_hi:[1,0,1] neg_lo:[1,0,0] neg_hi:[1,0,0]
	v_pk_add_f32 v[16:17], v[248:249], v[238:239] neg_lo:[0,1] neg_hi:[0,1]
	v_pk_add_f32 v[154:155], v[234:235], v[246:247] neg_lo:[0,1] neg_hi:[0,1]
	v_pk_add_f32 v[10:11], v[10:11], v[16:17]
	v_pk_add_f32 v[16:17], v[244:245], v[248:249] neg_lo:[0,1] neg_hi:[0,1]
	v_pk_add_f32 v[202:203], v[254:255], v[234:235] neg_lo:[0,1] neg_hi:[0,1]
	v_pk_mul_f32 v[18:19], v[16:17], s[6:7] op_sel_hi:[1,0]
	v_pk_mul_f32 v[222:223], v[202:203], s[6:7] op_sel_hi:[1,0]
	v_pk_add_f32 v[20:21], v[0:1], v[18:19] op_sel:[0,1] op_sel_hi:[1,0]
	v_pk_add_f32 v[0:1], v[0:1], v[18:19] op_sel:[0,1] op_sel_hi:[1,0] neg_lo:[0,1] neg_hi:[0,1]
	v_pk_add_f32 v[18:19], v[224:225], v[238:239] neg_lo:[0,1] neg_hi:[0,1]
	v_pk_add_f32 v[224:225], v[224:225], v[244:245] neg_lo:[0,1] neg_hi:[0,1]
	v_pk_mul_f32 v[22:23], v[18:19], s[8:9] op_sel_hi:[1,0]
	v_pk_mul_f32 v[18:19], v[18:19], s[6:7] op_sel_hi:[1,0]
	v_pk_add_f32 v[0:1], v[0:1], v[22:23] op_sel:[0,1] op_sel_hi:[1,0] neg_lo:[0,1] neg_hi:[0,1]
	v_pk_add_f32 v[20:21], v[20:21], v[22:23] op_sel:[0,1] op_sel_hi:[1,0]
	v_pk_add_f32 v[22:23], v[254:255], v[240:241] neg_lo:[0,1] neg_hi:[0,1]
	v_pk_mul_f32 v[16:17], v[16:17], s[8:9] op_sel_hi:[1,0]
	v_pk_add_f32 v[22:23], v[22:23], v[154:155]
	v_pk_add_f32 v[154:155], v[240:241], v[246:247]
	v_pk_mul_f32 v[202:203], v[202:203], s[8:9] op_sel_hi:[1,0]
	s_waitcnt lgkmcnt(1)
	v_pk_fma_f32 v[154:155], v[154:155], 0.5, v[4:5] op_sel_hi:[1,0,1] neg_lo:[1,0,0] neg_hi:[1,0,0]
	s_nop 0
	v_pk_add_f32 v[226:227], v[154:155], v[222:223] op_sel:[0,1] op_sel_hi:[1,0]
	v_pk_add_f32 v[154:155], v[154:155], v[222:223] op_sel:[0,1] op_sel_hi:[1,0] neg_lo:[0,1] neg_hi:[0,1]
	v_pk_add_f32 v[222:223], v[240:241], v[246:247] neg_lo:[0,1] neg_hi:[0,1]
	s_nop 0
	v_pk_mul_f32 v[228:229], v[222:223], s[8:9] op_sel_hi:[1,0]
	v_pk_mul_f32 v[222:223], v[222:223], s[6:7] op_sel_hi:[1,0]
	v_pk_add_f32 v[154:155], v[154:155], v[228:229] op_sel:[0,1] op_sel_hi:[1,0] neg_lo:[0,1] neg_hi:[0,1]
	v_pk_add_f32 v[226:227], v[226:227], v[228:229] op_sel:[0,1] op_sel_hi:[1,0]
	v_mov_b32_e32 v228, v20
	v_mov_b32_e32 v229, v1
	;; [unrolled: 1-line block ×4, first 2 shown]
	v_pk_fma_f32 v[228:229], v[10:11], s[2:3], v[228:229] op_sel_hi:[1,0,1]
	v_pk_fma_f32 v[232:233], v[22:23], s[2:3], v[232:233] op_sel_hi:[1,0,1]
	ds_write2_b64 v207, v[228:229], v[232:233] offset0:110 offset1:235
	v_pk_add_f32 v[228:229], v[238:239], v[248:249] neg_lo:[0,1] neg_hi:[0,1]
	v_mov_b32_e32 v1, v21
	v_pk_add_f32 v[224:225], v[224:225], v[228:229]
	v_pk_add_f32 v[228:229], v[2:3], v[18:19] op_sel:[0,1] op_sel_hi:[1,0] neg_lo:[0,1] neg_hi:[0,1]
	v_pk_add_f32 v[2:3], v[2:3], v[18:19] op_sel:[0,1] op_sel_hi:[1,0]
	v_pk_add_f32 v[18:19], v[240:241], v[254:255] neg_lo:[0,1] neg_hi:[0,1]
	v_pk_add_f32 v[2:3], v[2:3], v[16:17] op_sel:[0,1] op_sel_hi:[1,0] neg_lo:[0,1] neg_hi:[0,1]
	v_pk_add_f32 v[16:17], v[228:229], v[16:17] op_sel:[0,1] op_sel_hi:[1,0]
	v_pk_add_f32 v[228:229], v[246:247], v[234:235] neg_lo:[0,1] neg_hi:[0,1]
	v_mov_b32_e32 v155, v227
	v_pk_add_f32 v[18:19], v[18:19], v[228:229]
	v_pk_add_f32 v[228:229], v[254:255], v[234:235]
	v_pk_fma_f32 v[0:1], v[10:11], s[2:3], v[0:1] op_sel_hi:[1,0,1]
	v_pk_fma_f32 v[228:229], v[228:229], 0.5, v[4:5] op_sel_hi:[1,0,1] neg_lo:[1,0,0] neg_hi:[1,0,0]
	v_pk_add_f32 v[10:11], v[162:163], v[242:243] neg_lo:[0,1] neg_hi:[0,1]
	v_pk_add_f32 v[232:233], v[228:229], v[222:223] op_sel:[0,1] op_sel_hi:[1,0] neg_lo:[0,1] neg_hi:[0,1]
	v_pk_add_f32 v[222:223], v[228:229], v[222:223] op_sel:[0,1] op_sel_hi:[1,0]
	v_mov_b32_e32 v229, v3
	v_pk_add_f32 v[222:223], v[222:223], v[202:203] op_sel:[0,1] op_sel_hi:[1,0] neg_lo:[0,1] neg_hi:[0,1]
	v_pk_add_f32 v[202:203], v[232:233], v[202:203] op_sel:[0,1] op_sel_hi:[1,0]
	v_mov_b32_e32 v233, v223
	v_mov_b32_e32 v3, v17
	v_mov_b32_e32 v223, v203
	v_mov_b32_e32 v228, v16
	v_pk_fma_f32 v[2:3], v[224:225], s[2:3], v[2:3] op_sel_hi:[1,0,1]
	v_pk_fma_f32 v[16:17], v[18:19], s[2:3], v[222:223] op_sel_hi:[1,0,1]
	ds_write2_b64 v99, v[2:3], v[16:17] offset0:80 offset1:205
	v_pk_fma_f32 v[2:3], v[22:23], s[2:3], v[154:155] op_sel_hi:[1,0,1]
	ds_write2_b64 v143, v[0:1], v[2:3] offset0:65 offset1:190
	v_pk_add_f32 v[0:1], v[4:5], v[254:255]
	v_pk_add_f32 v[2:3], v[6:7], v[164:165]
	;; [unrolled: 1-line block ×6, first 2 shown]
	v_pk_fma_f32 v[228:229], v[224:225], s[2:3], v[228:229] op_sel_hi:[1,0,1]
	v_pk_add_f32 v[0:1], v[0:1], v[234:235]
	v_pk_add_f32 v[2:3], v[2:3], v[162:163]
	v_mov_b32_e32 v224, v147
	ds_write2_b64 v206, v[0:1], v[2:3] offset0:122 offset1:247
	v_pk_add_f32 v[0:1], v[158:159], v[242:243]
	v_pk_add_f32 v[2:3], v[164:165], v[162:163]
	v_pk_mul_f32 v[4:5], v[14:15], v[224:225] op_sel_hi:[1,0]
	v_pk_fma_f32 v[0:1], v[0:1], 0.5, v[6:7] op_sel_hi:[1,0,1] neg_lo:[1,0,0] neg_hi:[1,0,0]
	v_pk_fma_f32 v[2:3], v[2:3], 0.5, v[6:7] op_sel_hi:[1,0,1] neg_lo:[1,0,0] neg_hi:[1,0,0]
	v_pk_fma_f32 v[6:7], v[14:15], v[146:147], v[4:5] op_sel:[0,0,1] op_sel_hi:[1,1,0] neg_lo:[0,0,1] neg_hi:[0,0,1]
	v_pk_fma_f32 v[4:5], v[14:15], v[146:147], v[4:5] op_sel:[0,0,1] op_sel_hi:[1,0,0]
	v_mov_b32_e32 v232, v202
	v_mov_b32_e32 v7, v5
	v_pk_add_f32 v[4:5], v[164:165], v[158:159] neg_lo:[0,1] neg_hi:[0,1]
	v_pk_fma_f32 v[232:233], v[18:19], s[2:3], v[232:233] op_sel_hi:[1,0,1]
	v_pk_add_f32 v[4:5], v[4:5], v[10:11]
	v_pk_add_f32 v[10:11], v[164:165], v[162:163] neg_lo:[0,1] neg_hi:[0,1]
	v_pk_add_f32 v[18:19], v[6:7], v[8:9] neg_lo:[0,1] neg_hi:[0,1]
	v_pk_mul_f32 v[12:13], v[10:11], s[6:7] op_sel_hi:[1,0]
	v_pk_add_f32 v[20:21], v[252:253], v[6:7] neg_lo:[0,1] neg_hi:[0,1]
	v_pk_add_f32 v[14:15], v[0:1], v[12:13] op_sel:[0,1] op_sel_hi:[1,0]
	v_pk_add_f32 v[0:1], v[0:1], v[12:13] op_sel:[0,1] op_sel_hi:[1,0] neg_lo:[0,1] neg_hi:[0,1]
	v_pk_add_f32 v[12:13], v[158:159], v[242:243] neg_lo:[0,1] neg_hi:[0,1]
	v_pk_mul_f32 v[22:23], v[20:21], s[6:7] op_sel_hi:[1,0]
	v_pk_mul_f32 v[16:17], v[12:13], s[8:9] op_sel_hi:[1,0]
	v_pk_mul_f32 v[12:13], v[12:13], s[6:7] op_sel_hi:[1,0]
	v_pk_add_f32 v[0:1], v[0:1], v[16:17] op_sel:[0,1] op_sel_hi:[1,0] neg_lo:[0,1] neg_hi:[0,1]
	v_pk_add_f32 v[14:15], v[14:15], v[16:17] op_sel:[0,1] op_sel_hi:[1,0]
	v_pk_add_f32 v[16:17], v[252:253], v[160:161] neg_lo:[0,1] neg_hi:[0,1]
	v_pk_add_f32 v[32:33], v[2:3], v[12:13] op_sel:[0,1] op_sel_hi:[1,0] neg_lo:[0,1] neg_hi:[0,1]
	v_pk_add_f32 v[16:17], v[16:17], v[18:19]
	v_pk_add_f32 v[18:19], v[160:161], v[8:9]
	v_pk_add_f32 v[2:3], v[2:3], v[12:13] op_sel:[0,1] op_sel_hi:[1,0]
	v_pk_fma_f32 v[18:19], v[18:19], 0.5, v[152:153] op_sel_hi:[1,0,1] neg_lo:[1,0,0] neg_hi:[1,0,0]
	v_pk_mul_f32 v[10:11], v[10:11], s[8:9] op_sel_hi:[1,0]
	v_pk_add_f32 v[24:25], v[18:19], v[22:23] op_sel:[0,1] op_sel_hi:[1,0]
	v_pk_add_f32 v[18:19], v[18:19], v[22:23] op_sel:[0,1] op_sel_hi:[1,0] neg_lo:[0,1] neg_hi:[0,1]
	v_pk_add_f32 v[22:23], v[160:161], v[8:9] neg_lo:[0,1] neg_hi:[0,1]
	v_pk_add_f32 v[2:3], v[2:3], v[10:11] op_sel:[0,1] op_sel_hi:[1,0] neg_lo:[0,1] neg_hi:[0,1]
	v_pk_mul_f32 v[26:27], v[22:23], s[8:9] op_sel_hi:[1,0]
	v_pk_add_f32 v[10:11], v[32:33], v[10:11] op_sel:[0,1] op_sel_hi:[1,0]
	v_pk_add_f32 v[18:19], v[18:19], v[26:27] op_sel:[0,1] op_sel_hi:[1,0] neg_lo:[0,1] neg_hi:[0,1]
	v_pk_add_f32 v[24:25], v[24:25], v[26:27] op_sel:[0,1] op_sel_hi:[1,0]
	v_mov_b32_e32 v26, v14
	v_mov_b32_e32 v27, v1
	;; [unrolled: 1-line block ×4, first 2 shown]
	v_pk_fma_f32 v[26:27], v[4:5], s[2:3], v[26:27] op_sel_hi:[1,0,1]
	v_pk_fma_f32 v[28:29], v[16:17], s[2:3], v[28:29] op_sel_hi:[1,0,1]
	ds_write2_b64 v205, v[26:27], v[28:29] offset0:104 offset1:229
	v_pk_add_f32 v[26:27], v[252:253], v[6:7]
	v_pk_add_f32 v[12:13], v[160:161], v[252:253] neg_lo:[0,1] neg_hi:[0,1]
	v_pk_fma_f32 v[26:27], v[26:27], 0.5, v[152:153] op_sel_hi:[1,0,1] neg_lo:[1,0,0] neg_hi:[1,0,0]
	v_pk_add_f32 v[32:33], v[8:9], v[6:7] neg_lo:[0,1] neg_hi:[0,1]
	v_pk_mul_f32 v[22:23], v[22:23], s[6:7] op_sel_hi:[1,0]
	v_pk_add_f32 v[12:13], v[12:13], v[32:33]
	v_pk_add_f32 v[32:33], v[26:27], v[22:23] op_sel:[0,1] op_sel_hi:[1,0] neg_lo:[0,1] neg_hi:[0,1]
	v_pk_add_f32 v[22:23], v[26:27], v[22:23] op_sel:[0,1] op_sel_hi:[1,0]
	v_pk_mul_f32 v[20:21], v[20:21], s[8:9] op_sel_hi:[1,0]
	v_mov_b32_e32 v27, v3
	v_pk_add_f32 v[22:23], v[22:23], v[20:21] op_sel:[0,1] op_sel_hi:[1,0] neg_lo:[0,1] neg_hi:[0,1]
	v_pk_add_f32 v[20:21], v[32:33], v[20:21] op_sel:[0,1] op_sel_hi:[1,0]
	v_mov_b32_e32 v33, v23
	v_mov_b32_e32 v3, v11
	;; [unrolled: 1-line block ×4, first 2 shown]
	v_pk_fma_f32 v[2:3], v[30:31], s[2:3], v[2:3] op_sel_hi:[1,0,1]
	v_pk_fma_f32 v[10:11], v[12:13], s[2:3], v[22:23] op_sel_hi:[1,0,1]
	v_mov_b32_e32 v1, v15
	v_mov_b32_e32 v19, v25
	v_pk_add_f32 v[28:29], v[152:153], v[252:253]
	ds_write2_b64 v209, v[2:3], v[10:11] offset0:74 offset1:199
	v_pk_fma_f32 v[0:1], v[4:5], s[2:3], v[0:1] op_sel_hi:[1,0,1]
	v_pk_fma_f32 v[2:3], v[16:17], s[2:3], v[18:19] op_sel_hi:[1,0,1]
	ds_write2_b64 v135, v[0:1], v[2:3] offset0:59 offset1:184
	v_pk_add_f32 v[0:1], v[28:29], v[160:161]
	v_mov_b32_e32 v32, v20
	v_pk_add_f32 v[0:1], v[0:1], v[8:9]
	v_pk_fma_f32 v[26:27], v[30:31], s[2:3], v[26:27] op_sel_hi:[1,0,1]
	v_pk_fma_f32 v[32:33], v[12:13], s[2:3], v[32:33] op_sel_hi:[1,0,1]
	v_pk_add_f32 v[0:1], v[0:1], v[6:7]
	s_movk_i32 s3, 0x6000
	ds_write_b64 v208, v[0:1] offset:4000
	v_add_co_u32_e32 v0, vcc, s3, v156
	ds_write2_b64 v139, v[228:229], v[232:233] offset0:95 offset1:220
	s_nop 0
	v_addc_co_u32_e32 v1, vcc, 0, v157, vcc
	ds_write2_b64 v131, v[26:27], v[32:33] offset0:89 offset1:214
	s_waitcnt lgkmcnt(0)
	s_barrier
	global_load_dwordx2 v[6:7], v[0:1], off offset:424
	s_movk_i32 s3, 0x7000
	v_add_co_u32_e32 v0, vcc, s3, v156
	s_mov_b32 s3, 0x8000
	s_nop 0
	v_addc_co_u32_e32 v1, vcc, 0, v157, vcc
	global_load_dwordx2 v[152:153], v[0:1], off offset:1328
	global_load_dwordx2 v[154:155], v[0:1], off offset:2328
	s_nop 0
	global_load_dwordx2 v[0:1], v[0:1], off offset:3328
	ds_read2_b64 v[2:5], v208 offset1:125
	v_mov_b32_e32 v147, v181
	s_waitcnt vmcnt(3) lgkmcnt(0)
	v_mul_f32_e32 v8, v3, v7
	v_mul_f32_e32 v9, v2, v7
	v_fma_f32 v8, v2, v6, -v8
	v_fmac_f32_e32 v9, v3, v6
	v_lshl_add_u64 v[2:3], v[156:157], 0, s[10:11]
	global_load_dwordx2 v[6:7], v[2:3], off offset:1000
	global_load_dwordx2 v[10:11], v[2:3], off offset:2000
	;; [unrolled: 1-line block ×4, first 2 shown]
	ds_write_b64 v208, v[8:9]
	s_waitcnt vmcnt(3)
	v_mul_f32_e32 v2, v5, v7
	v_mul_f32_e32 v15, v4, v7
	v_fma_f32 v14, v4, v6, -v2
	v_fmac_f32_e32 v15, v5, v6
	v_add_co_u32_e32 v6, vcc, s3, v156
	s_mov_b32 s3, 0xa000
	s_nop 0
	v_addc_co_u32_e32 v7, vcc, 0, v157, vcc
	global_load_dwordx2 v[8:9], v[6:7], off offset:2232
	global_load_dwordx2 v[16:17], v[6:7], off offset:3232
	;; [unrolled: 1-line block ×3, first 2 shown]
	ds_read2_b64 v[2:5], v115 offset0:98 offset1:223
	s_waitcnt vmcnt(2) lgkmcnt(0)
	v_mul_f32_e32 v20, v3, v9
	v_fma_f32 v20, v2, v8, -v20
	v_mul_f32_e32 v21, v2, v9
	s_waitcnt vmcnt(1)
	v_mul_f32_e32 v2, v5, v17
	v_mul_f32_e32 v9, v4, v17
	v_fmac_f32_e32 v21, v3, v8
	v_fma_f32 v8, v4, v16, -v2
	v_fmac_f32_e32 v9, v5, v16
	v_add_co_u32_e32 v16, vcc, s3, v156
	s_mov_b32 s3, 0xb000
	s_nop 0
	v_addc_co_u32_e32 v17, vcc, 0, v157, vcc
	v_add_co_u32_e32 v22, vcc, s3, v156
	s_mov_b32 s3, 0x9000
	s_nop 0
	v_addc_co_u32_e32 v23, vcc, 0, v157, vcc
	global_load_dwordx2 v[24:25], v[16:17], off offset:4040
	global_load_dwordx2 v[26:27], v[22:23], off offset:944
	;; [unrolled: 1-line block ×4, first 2 shown]
	ds_read2_b64 v[2:5], v107 offset0:68 offset1:193
	s_waitcnt vmcnt(3) lgkmcnt(0)
	v_mul_f32_e32 v32, v3, v25
	v_fma_f32 v32, v2, v24, -v32
	v_mul_f32_e32 v33, v2, v25
	s_waitcnt vmcnt(2)
	v_mul_f32_e32 v2, v5, v27
	v_mul_f32_e32 v25, v4, v27
	v_fmac_f32_e32 v33, v3, v24
	v_fma_f32 v24, v4, v26, -v2
	v_fmac_f32_e32 v25, v5, v26
	ds_read2_b64 v[2:5], v207 offset0:110 offset1:235
	s_waitcnt lgkmcnt(0)
	v_mul_f32_e32 v26, v3, v155
	v_fma_f32 v26, v2, v154, -v26
	v_mul_f32_e32 v27, v2, v155
	v_mul_f32_e32 v2, v5, v1
	;; [unrolled: 1-line block ×3, first 2 shown]
	v_fmac_f32_e32 v27, v3, v154
	v_fma_f32 v154, v4, v0, -v2
	v_fmac_f32_e32 v155, v5, v0
	global_load_dwordx2 v[4:5], v[16:17], off offset:40
	global_load_dwordx2 v[160:161], v[16:17], off offset:1040
	;; [unrolled: 1-line block ×3, first 2 shown]
	s_nop 0
	global_load_dwordx2 v[16:17], v[16:17], off offset:3040
	ds_read2_b64 v[0:3], v99 offset0:80 offset1:205
	s_waitcnt vmcnt(3) lgkmcnt(0)
	v_mul_f32_e32 v99, v1, v5
	v_fma_f32 v164, v0, v4, -v99
	v_mul_f32_e32 v165, v0, v5
	s_waitcnt vmcnt(2)
	v_mul_f32_e32 v0, v3, v161
	v_mul_f32_e32 v5, v2, v161
	v_fmac_f32_e32 v165, v1, v4
	v_fma_f32 v4, v2, v160, -v0
	v_fmac_f32_e32 v5, v3, v160
	ds_read2_b64 v[0:3], v206 offset0:122 offset1:247
	s_waitcnt lgkmcnt(0)
	v_mul_f32_e32 v99, v1, v11
	v_fma_f32 v160, v0, v10, -v99
	v_mul_f32_e32 v161, v0, v11
	v_mul_f32_e32 v0, v3, v13
	v_fmac_f32_e32 v161, v1, v10
	v_fma_f32 v10, v2, v12, -v0
	v_add_co_u32_e32 v0, vcc, s3, v156
	v_mul_f32_e32 v11, v2, v13
	s_nop 0
	v_addc_co_u32_e32 v1, vcc, 0, v157, vcc
	v_fmac_f32_e32 v11, v3, v12
	global_load_dwordx2 v[12:13], v[0:1], off offset:136
	global_load_dwordx2 v[156:157], v[0:1], off offset:1136
	;; [unrolled: 1-line block ×4, first 2 shown]
	ds_read2_b64 v[0:3], v111 offset0:92 offset1:217
	global_load_dwordx2 v[6:7], v[6:7], off offset:232
	s_waitcnt vmcnt(4) lgkmcnt(0)
	v_mul_f32_e32 v99, v1, v13
	v_fma_f32 v226, v0, v12, -v99
	v_mul_f32_e32 v227, v0, v13
	s_waitcnt vmcnt(3)
	v_mul_f32_e32 v0, v3, v157
	v_mul_f32_e32 v13, v2, v157
	v_fmac_f32_e32 v227, v1, v12
	v_fma_f32 v12, v2, v156, -v0
	v_fmac_f32_e32 v13, v3, v156
	ds_read2_b64 v[0:3], v103 offset0:62 offset1:187
	s_waitcnt lgkmcnt(0)
	v_mul_f32_e32 v99, v1, v29
	v_fma_f32 v156, v0, v28, -v99
	v_mul_f32_e32 v157, v0, v29
	v_mul_f32_e32 v0, v3, v31
	v_mul_f32_e32 v29, v2, v31
	v_fmac_f32_e32 v157, v1, v28
	v_fma_f32 v28, v2, v30, -v0
	v_fmac_f32_e32 v29, v3, v30
	ds_read2_b64 v[0:3], v79 offset0:116 offset1:241
	s_waitcnt lgkmcnt(0)
	v_mul_f32_e32 v30, v3, v153
	v_fma_f32 v30, v2, v152, -v30
	v_mul_f32_e32 v31, v2, v153
	v_mul_f32_e32 v2, v1, v159
	;; [unrolled: 1-line block ×3, first 2 shown]
	v_fmac_f32_e32 v31, v3, v152
	v_fma_f32 v152, v0, v158, -v2
	v_fmac_f32_e32 v153, v1, v158
	ds_read2_b64 v[0:3], v205 offset0:104 offset1:229
	s_waitcnt vmcnt(0) lgkmcnt(0)
	v_mul_f32_e32 v99, v1, v7
	v_fma_f32 v158, v0, v6, -v99
	v_mul_f32_e32 v159, v0, v7
	v_mul_f32_e32 v0, v3, v19
	;; [unrolled: 1-line block ×3, first 2 shown]
	v_fmac_f32_e32 v159, v1, v6
	v_fma_f32 v6, v2, v18, -v0
	v_fmac_f32_e32 v7, v3, v18
	ds_read2_b64 v[0:3], v181 offset0:86 offset1:211
	s_waitcnt lgkmcnt(0)
	v_mul_f32_e32 v18, v3, v223
	v_fma_f32 v18, v2, v222, -v18
	v_mul_f32_e32 v19, v2, v223
	v_mul_f32_e32 v2, v1, v203
	;; [unrolled: 1-line block ×3, first 2 shown]
	v_fmac_f32_e32 v19, v3, v222
	v_fma_f32 v222, v0, v202, -v2
	v_fmac_f32_e32 v223, v1, v202
	ds_read2_b64 v[0:3], v209 offset0:74 offset1:199
	s_waitcnt lgkmcnt(0)
	v_mul_f32_e32 v99, v1, v163
	v_fma_f32 v202, v0, v162, -v99
	v_mul_f32_e32 v203, v0, v163
	v_mul_f32_e32 v0, v3, v17
	v_fmac_f32_e32 v203, v1, v162
	v_fma_f32 v0, v2, v16, -v0
	v_mul_f32_e32 v1, v2, v17
	v_add_u32_e32 v2, 0x1000, v208
	ds_write2_b64 v2, v[30:31], v[26:27] offset0:113 offset1:238
	v_add_u32_e32 v2, 0x3800, v208
	ds_write2_b64 v2, v[18:19], v[164:165] offset0:83 offset1:208
	v_add_u32_e32 v2, 0x1800, v208
	ds_write2_b64 v2, v[154:155], v[158:159] offset0:107 offset1:232
	v_add_u32_e32 v2, 0x4000, v208
	ds_write2_b64 v2, v[4:5], v[202:203] offset0:77 offset1:202
	v_add_u32_e32 v2, 0x800, v208
	ds_write2_b64 v2, v[10:11], v[152:153] offset0:119 offset1:244
	v_add_u32_e32 v2, 0x2000, v208
	v_fmac_f32_e32 v1, v3, v16
	ds_write2_b64 v2, v[6:7], v[20:21] offset0:101 offset1:226
	v_add_u32_e32 v2, 0x4800, v208
	ds_write2_b64 v2, v[0:1], v[32:33] offset0:71 offset1:196
	ds_write2_b64 v208, v[14:15], v[160:161] offset0:125 offset1:250
	;; [unrolled: 1-line block ×5, first 2 shown]
	global_load_dwordx2 v[0:1], v[22:23], off offset:3944
	ds_read_b64 v[2:3], v208 offset:24000
	s_waitcnt vmcnt(0) lgkmcnt(0)
	v_mul_f32_e32 v4, v3, v1
	v_mul_f32_e32 v5, v2, v1
	v_fma_f32 v4, v2, v0, -v4
	v_fmac_f32_e32 v5, v3, v0
	ds_write2_b64 v135, v[28:29], v[4:5] offset0:59 offset1:184
	s_waitcnt lgkmcnt(0)
	s_barrier
	ds_read2_b64 v[156:159], v115 offset0:98 offset1:223
	ds_read2_b64 v[152:155], v79 offset0:116 offset1:241
	;; [unrolled: 1-line block ×4, first 2 shown]
	s_waitcnt lgkmcnt(2)
	v_pk_add_f32 v[4:5], v[154:155], v[156:157] neg_lo:[0,1] neg_hi:[0,1]
	s_waitcnt lgkmcnt(0)
	v_pk_add_f32 v[6:7], v[0:1], v[162:163] neg_lo:[0,1] neg_hi:[0,1]
	v_pk_add_f32 v[8:9], v[156:157], v[162:163]
	v_pk_add_f32 v[16:17], v[4:5], v[6:7]
	ds_read2_b64 v[4:7], v208 offset1:125
	v_pk_add_f32 v[18:19], v[154:155], v[0:1] neg_lo:[0,1] neg_hi:[0,1]
	v_pk_add_f32 v[20:21], v[156:157], v[162:163] neg_lo:[0,1] neg_hi:[0,1]
	v_pk_mul_f32 v[10:11], v[18:19], s[6:7] op_sel_hi:[1,0]
	s_waitcnt lgkmcnt(0)
	v_pk_fma_f32 v[8:9], v[8:9], 0.5, v[4:5] op_sel_hi:[1,0,1] neg_lo:[1,0,0] neg_hi:[1,0,0]
	s_nop 0
	v_pk_add_f32 v[12:13], v[8:9], v[10:11] op_sel:[0,1] op_sel_hi:[1,0] neg_lo:[0,1] neg_hi:[0,1]
	v_pk_add_f32 v[8:9], v[8:9], v[10:11] op_sel:[0,1] op_sel_hi:[1,0]
	v_pk_mul_f32 v[10:11], v[20:21], s[8:9] op_sel_hi:[1,0]
	s_nop 0
	v_pk_add_f32 v[22:23], v[8:9], v[10:11] op_sel:[0,1] op_sel_hi:[1,0]
	v_pk_add_f32 v[8:9], v[4:5], v[154:155]
	v_pk_add_f32 v[24:25], v[12:13], v[10:11] op_sel:[0,1] op_sel_hi:[1,0] neg_lo:[0,1] neg_hi:[0,1]
	v_pk_add_f32 v[8:9], v[8:9], v[156:157]
	v_mov_b32_e32 v30, v24
	v_pk_add_f32 v[8:9], v[8:9], v[162:163]
	v_mov_b32_e32 v31, v23
	v_pk_add_f32 v[26:27], v[8:9], v[0:1]
	v_pk_fma_f32 v[30:31], v[16:17], s[2:3], v[30:31] op_sel_hi:[1,0,1]
	v_accvgpr_read_b32 v23, a48
	ds_read_b64 v[28:29], v208 offset:24000
	ds_read2_b64 v[8:11], v207 offset0:110 offset1:235
	ds_read2_b64 v[12:15], v151 offset0:80 offset1:205
	;; [unrolled: 1-line block ×7, first 2 shown]
	s_waitcnt lgkmcnt(0)
	s_barrier
	ds_write2_b64 v23, v[26:27], v[30:31] offset1:1
	v_pk_add_f32 v[30:31], v[162:163], v[0:1] neg_lo:[0,1] neg_hi:[0,1]
	v_pk_add_f32 v[0:1], v[154:155], v[0:1]
	v_pk_add_f32 v[26:27], v[156:157], v[154:155] neg_lo:[0,1] neg_hi:[0,1]
	v_pk_fma_f32 v[0:1], v[0:1], 0.5, v[4:5] op_sel_hi:[1,0,1] neg_lo:[1,0,0] neg_hi:[1,0,0]
	v_pk_mul_f32 v[4:5], v[20:21], s[6:7] op_sel_hi:[1,0]
	v_pk_add_f32 v[26:27], v[26:27], v[30:31]
	v_pk_add_f32 v[20:21], v[0:1], v[4:5] op_sel:[0,1] op_sel_hi:[1,0]
	v_pk_add_f32 v[0:1], v[0:1], v[4:5] op_sel:[0,1] op_sel_hi:[1,0] neg_lo:[0,1] neg_hi:[0,1]
	v_pk_mul_f32 v[4:5], v[18:19], s[8:9] op_sel_hi:[1,0]
	v_mov_b32_e32 v23, v25
	v_pk_add_f32 v[0:1], v[0:1], v[4:5] op_sel:[0,1] op_sel_hi:[1,0]
	v_pk_add_f32 v[4:5], v[20:21], v[4:5] op_sel:[0,1] op_sel_hi:[1,0] neg_lo:[0,1] neg_hi:[0,1]
	v_mov_b32_e32 v19, v1
	v_mov_b32_e32 v18, v4
	;; [unrolled: 1-line block ×3, first 2 shown]
	v_pk_fma_f32 v[4:5], v[26:27], s[2:3], v[18:19] op_sel_hi:[1,0,1]
	v_pk_fma_f32 v[0:1], v[26:27], s[2:3], v[0:1] op_sel_hi:[1,0,1]
	v_accvgpr_read_b32 v18, a48
	ds_write2_b64 v18, v[4:5], v[0:1] offset0:2 offset1:3
	v_pk_fma_f32 v[0:1], v[16:17], s[2:3], v[22:23] op_sel_hi:[1,0,1]
	ds_write_b64 v18, v[0:1] offset:32
	v_pk_add_f32 v[16:17], v[8:9], v[158:159] neg_lo:[0,1] neg_hi:[0,1]
	v_pk_add_f32 v[18:19], v[2:3], v[12:13] neg_lo:[0,1] neg_hi:[0,1]
	v_pk_add_f32 v[0:1], v[158:159], v[12:13]
	v_pk_add_f32 v[16:17], v[16:17], v[18:19]
	v_pk_add_f32 v[18:19], v[8:9], v[2:3] neg_lo:[0,1] neg_hi:[0,1]
	v_pk_fma_f32 v[0:1], v[0:1], 0.5, v[6:7] op_sel_hi:[1,0,1] neg_lo:[1,0,0] neg_hi:[1,0,0]
	v_pk_mul_f32 v[20:21], v[18:19], s[6:7] op_sel_hi:[1,0]
	v_pk_add_f32 v[4:5], v[8:9], v[2:3]
	v_pk_add_f32 v[22:23], v[0:1], v[20:21] op_sel:[0,1] op_sel_hi:[1,0] neg_lo:[0,1] neg_hi:[0,1]
	v_pk_add_f32 v[0:1], v[0:1], v[20:21] op_sel:[0,1] op_sel_hi:[1,0]
	v_pk_add_f32 v[20:21], v[158:159], v[12:13] neg_lo:[0,1] neg_hi:[0,1]
	v_pk_fma_f32 v[4:5], v[4:5], 0.5, v[6:7] op_sel_hi:[1,0,1] neg_lo:[1,0,0] neg_hi:[1,0,0]
	v_pk_add_f32 v[6:7], v[6:7], v[8:9]
	v_pk_mul_f32 v[24:25], v[20:21], s[8:9] op_sel_hi:[1,0]
	v_pk_add_f32 v[6:7], v[6:7], v[158:159]
	v_pk_add_f32 v[0:1], v[0:1], v[24:25] op_sel:[0,1] op_sel_hi:[1,0]
	v_pk_add_f32 v[22:23], v[22:23], v[24:25] op_sel:[0,1] op_sel_hi:[1,0] neg_lo:[0,1] neg_hi:[0,1]
	v_pk_add_f32 v[6:7], v[6:7], v[12:13]
	v_mov_b32_e32 v24, v22
	v_mov_b32_e32 v25, v1
	v_pk_add_f32 v[6:7], v[6:7], v[2:3]
	v_pk_fma_f32 v[24:25], v[16:17], s[2:3], v[24:25] op_sel_hi:[1,0,1]
	v_accvgpr_read_b32 v1, a47
	ds_write2_b64 v1, v[6:7], v[24:25] offset1:1
	v_pk_add_f32 v[6:7], v[158:159], v[8:9] neg_lo:[0,1] neg_hi:[0,1]
	v_pk_add_f32 v[2:3], v[12:13], v[2:3] neg_lo:[0,1] neg_hi:[0,1]
	v_mov_b32_e32 v1, v23
	v_pk_add_f32 v[2:3], v[6:7], v[2:3]
	v_pk_mul_f32 v[6:7], v[20:21], s[6:7] op_sel_hi:[1,0]
	v_pk_fma_f32 v[0:1], v[16:17], s[2:3], v[0:1] op_sel_hi:[1,0,1]
	v_pk_add_f32 v[8:9], v[4:5], v[6:7] op_sel:[0,1] op_sel_hi:[1,0]
	v_pk_add_f32 v[4:5], v[4:5], v[6:7] op_sel:[0,1] op_sel_hi:[1,0] neg_lo:[0,1] neg_hi:[0,1]
	v_pk_mul_f32 v[6:7], v[18:19], s[8:9] op_sel_hi:[1,0]
	s_nop 0
	v_pk_add_f32 v[4:5], v[4:5], v[6:7] op_sel:[0,1] op_sel_hi:[1,0]
	v_pk_add_f32 v[6:7], v[8:9], v[6:7] op_sel:[0,1] op_sel_hi:[1,0] neg_lo:[0,1] neg_hi:[0,1]
	v_mov_b32_e32 v9, v5
	v_mov_b32_e32 v8, v6
	;; [unrolled: 1-line block ×3, first 2 shown]
	v_pk_fma_f32 v[6:7], v[2:3], s[2:3], v[8:9] op_sel_hi:[1,0,1]
	v_pk_fma_f32 v[2:3], v[2:3], s[2:3], v[4:5] op_sel_hi:[1,0,1]
	v_accvgpr_read_b32 v4, a47
	ds_write2_b64 v4, v[6:7], v[2:3] offset0:2 offset1:3
	ds_write_b64 v4, v[0:1] offset:32
	v_pk_add_f32 v[0:1], v[10:11], v[238:239] neg_lo:[0,1] neg_hi:[0,1]
	v_pk_add_f32 v[2:3], v[242:243], v[14:15] neg_lo:[0,1] neg_hi:[0,1]
	;; [unrolled: 1-line block ×3, first 2 shown]
	v_pk_add_f32 v[0:1], v[0:1], v[2:3]
	v_pk_add_f32 v[2:3], v[238:239], v[14:15]
	v_pk_mul_f32 v[6:7], v[4:5], s[6:7] op_sel_hi:[1,0]
	v_pk_fma_f32 v[2:3], v[2:3], 0.5, v[234:235] op_sel_hi:[1,0,1] neg_lo:[1,0,0] neg_hi:[1,0,0]
	v_pk_mul_f32 v[4:5], v[4:5], s[8:9] op_sel_hi:[1,0]
	v_pk_add_f32 v[8:9], v[2:3], v[6:7] op_sel:[0,1] op_sel_hi:[1,0] neg_lo:[0,1] neg_hi:[0,1]
	v_pk_add_f32 v[2:3], v[2:3], v[6:7] op_sel:[0,1] op_sel_hi:[1,0]
	v_pk_add_f32 v[6:7], v[238:239], v[14:15] neg_lo:[0,1] neg_hi:[0,1]
	s_nop 0
	v_pk_mul_f32 v[12:13], v[6:7], s[8:9] op_sel_hi:[1,0]
	v_pk_mul_f32 v[6:7], v[6:7], s[6:7] op_sel_hi:[1,0]
	v_pk_add_f32 v[2:3], v[2:3], v[12:13] op_sel:[0,1] op_sel_hi:[1,0]
	v_pk_add_f32 v[8:9], v[8:9], v[12:13] op_sel:[0,1] op_sel_hi:[1,0] neg_lo:[0,1] neg_hi:[0,1]
	v_pk_add_f32 v[12:13], v[234:235], v[10:11]
	v_mov_b32_e32 v16, v8
	v_pk_add_f32 v[12:13], v[12:13], v[238:239]
	v_mov_b32_e32 v17, v3
	v_pk_add_f32 v[12:13], v[12:13], v[14:15]
	v_pk_fma_f32 v[16:17], v[0:1], s[2:3], v[16:17] op_sel_hi:[1,0,1]
	v_pk_add_f32 v[12:13], v[12:13], v[242:243]
	v_accvgpr_read_b32 v8, a46
	ds_write2_b64 v8, v[12:13], v[16:17] offset1:1
	v_pk_add_f32 v[12:13], v[10:11], v[242:243]
	v_pk_add_f32 v[10:11], v[238:239], v[10:11] neg_lo:[0,1] neg_hi:[0,1]
	v_pk_add_f32 v[14:15], v[14:15], v[242:243] neg_lo:[0,1] neg_hi:[0,1]
	v_pk_fma_f32 v[12:13], v[12:13], 0.5, v[234:235] op_sel_hi:[1,0,1] neg_lo:[1,0,0] neg_hi:[1,0,0]
	v_pk_add_f32 v[10:11], v[10:11], v[14:15]
	v_pk_add_f32 v[14:15], v[12:13], v[6:7] op_sel:[0,1] op_sel_hi:[1,0]
	v_pk_add_f32 v[6:7], v[12:13], v[6:7] op_sel:[0,1] op_sel_hi:[1,0] neg_lo:[0,1] neg_hi:[0,1]
	v_mov_b32_e32 v3, v9
	v_pk_add_f32 v[6:7], v[6:7], v[4:5] op_sel:[0,1] op_sel_hi:[1,0]
	v_pk_add_f32 v[4:5], v[14:15], v[4:5] op_sel:[0,1] op_sel_hi:[1,0] neg_lo:[0,1] neg_hi:[0,1]
	v_mov_b32_e32 v13, v7
	v_mov_b32_e32 v12, v4
	;; [unrolled: 1-line block ×3, first 2 shown]
	v_pk_fma_f32 v[4:5], v[10:11], s[2:3], v[12:13] op_sel_hi:[1,0,1]
	v_pk_fma_f32 v[6:7], v[10:11], s[2:3], v[6:7] op_sel_hi:[1,0,1]
	;; [unrolled: 1-line block ×3, first 2 shown]
	ds_write2_b64 v8, v[4:5], v[6:7] offset0:2 offset1:3
	ds_write_b64 v8, v[0:1] offset:32
	v_pk_add_f32 v[6:7], v[246:247], v[240:241] neg_lo:[0,1] neg_hi:[0,1]
	v_pk_add_f32 v[8:9], v[244:245], v[252:253] neg_lo:[0,1] neg_hi:[0,1]
	v_pk_add_f32 v[0:1], v[240:241], v[252:253]
	v_pk_add_f32 v[6:7], v[6:7], v[8:9]
	v_pk_add_f32 v[8:9], v[246:247], v[244:245] neg_lo:[0,1] neg_hi:[0,1]
	v_pk_fma_f32 v[0:1], v[0:1], 0.5, v[236:237] op_sel_hi:[1,0,1] neg_lo:[1,0,0] neg_hi:[1,0,0]
	v_pk_mul_f32 v[10:11], v[8:9], s[6:7] op_sel_hi:[1,0]
	v_pk_add_f32 v[4:5], v[236:237], v[246:247]
	v_pk_add_f32 v[12:13], v[0:1], v[10:11] op_sel:[0,1] op_sel_hi:[1,0] neg_lo:[0,1] neg_hi:[0,1]
	v_pk_add_f32 v[0:1], v[0:1], v[10:11] op_sel:[0,1] op_sel_hi:[1,0]
	v_pk_add_f32 v[10:11], v[240:241], v[252:253] neg_lo:[0,1] neg_hi:[0,1]
	v_pk_add_f32 v[4:5], v[4:5], v[240:241]
	v_pk_mul_f32 v[14:15], v[10:11], s[8:9] op_sel_hi:[1,0]
	v_pk_add_f32 v[4:5], v[4:5], v[252:253]
	v_pk_add_f32 v[0:1], v[0:1], v[14:15] op_sel:[0,1] op_sel_hi:[1,0]
	v_pk_add_f32 v[12:13], v[12:13], v[14:15] op_sel:[0,1] op_sel_hi:[1,0] neg_lo:[0,1] neg_hi:[0,1]
	v_mov_b32_e32 v15, v1
	v_mov_b32_e32 v14, v12
	v_pk_add_f32 v[2:3], v[246:247], v[244:245]
	v_pk_add_f32 v[4:5], v[4:5], v[244:245]
	v_pk_fma_f32 v[14:15], v[6:7], s[2:3], v[14:15] op_sel_hi:[1,0,1]
	v_accvgpr_read_b32 v1, a45
	v_pk_fma_f32 v[2:3], v[2:3], 0.5, v[236:237] op_sel_hi:[1,0,1] neg_lo:[1,0,0] neg_hi:[1,0,0]
	ds_write2_b64 v1, v[4:5], v[14:15] offset1:1
	v_pk_add_f32 v[4:5], v[240:241], v[246:247] neg_lo:[0,1] neg_hi:[0,1]
	v_pk_add_f32 v[14:15], v[252:253], v[244:245] neg_lo:[0,1] neg_hi:[0,1]
	v_pk_mul_f32 v[10:11], v[10:11], s[6:7] op_sel_hi:[1,0]
	v_pk_add_f32 v[4:5], v[4:5], v[14:15]
	v_pk_add_f32 v[14:15], v[2:3], v[10:11] op_sel:[0,1] op_sel_hi:[1,0]
	v_pk_add_f32 v[2:3], v[2:3], v[10:11] op_sel:[0,1] op_sel_hi:[1,0] neg_lo:[0,1] neg_hi:[0,1]
	v_pk_mul_f32 v[8:9], v[8:9], s[8:9] op_sel_hi:[1,0]
	v_mov_b32_e32 v1, v13
	v_pk_add_f32 v[2:3], v[2:3], v[8:9] op_sel:[0,1] op_sel_hi:[1,0]
	v_pk_add_f32 v[8:9], v[14:15], v[8:9] op_sel:[0,1] op_sel_hi:[1,0] neg_lo:[0,1] neg_hi:[0,1]
	v_mov_b32_e32 v11, v3
	v_mov_b32_e32 v10, v8
	;; [unrolled: 1-line block ×3, first 2 shown]
	v_pk_fma_f32 v[8:9], v[4:5], s[2:3], v[10:11] op_sel_hi:[1,0,1]
	v_pk_fma_f32 v[2:3], v[4:5], s[2:3], v[2:3] op_sel_hi:[1,0,1]
	v_accvgpr_read_b32 v4, a45
	v_pk_fma_f32 v[0:1], v[6:7], s[2:3], v[0:1] op_sel_hi:[1,0,1]
	ds_write2_b64 v4, v[8:9], v[2:3] offset0:2 offset1:3
	ds_write_b64 v4, v[0:1] offset:32
	v_pk_add_f32 v[0:1], v[248:249], v[160:161] neg_lo:[0,1] neg_hi:[0,1]
	v_pk_add_f32 v[2:3], v[28:29], v[254:255] neg_lo:[0,1] neg_hi:[0,1]
	;; [unrolled: 1-line block ×3, first 2 shown]
	v_pk_add_f32 v[0:1], v[0:1], v[2:3]
	v_pk_add_f32 v[2:3], v[160:161], v[254:255]
	v_pk_mul_f32 v[6:7], v[4:5], s[6:7] op_sel_hi:[1,0]
	v_pk_fma_f32 v[2:3], v[2:3], 0.5, v[152:153] op_sel_hi:[1,0,1] neg_lo:[1,0,0] neg_hi:[1,0,0]
	v_pk_add_f32 v[14:15], v[254:255], v[28:29] neg_lo:[0,1] neg_hi:[0,1]
	v_pk_add_f32 v[8:9], v[2:3], v[6:7] op_sel:[0,1] op_sel_hi:[1,0] neg_lo:[0,1] neg_hi:[0,1]
	v_pk_add_f32 v[2:3], v[2:3], v[6:7] op_sel:[0,1] op_sel_hi:[1,0]
	v_pk_add_f32 v[6:7], v[160:161], v[254:255] neg_lo:[0,1] neg_hi:[0,1]
	v_pk_mul_f32 v[4:5], v[4:5], s[8:9] op_sel_hi:[1,0]
	v_pk_mul_f32 v[10:11], v[6:7], s[8:9] op_sel_hi:[1,0]
	;; [unrolled: 1-line block ×3, first 2 shown]
	v_pk_add_f32 v[2:3], v[2:3], v[10:11] op_sel:[0,1] op_sel_hi:[1,0]
	v_pk_add_f32 v[8:9], v[8:9], v[10:11] op_sel:[0,1] op_sel_hi:[1,0] neg_lo:[0,1] neg_hi:[0,1]
	v_pk_add_f32 v[10:11], v[152:153], v[248:249]
	v_mov_b32_e32 v12, v8
	v_pk_add_f32 v[10:11], v[10:11], v[160:161]
	v_mov_b32_e32 v13, v3
	v_pk_add_f32 v[10:11], v[10:11], v[254:255]
	v_pk_fma_f32 v[12:13], v[0:1], s[2:3], v[12:13] op_sel_hi:[1,0,1]
	v_pk_add_f32 v[10:11], v[10:11], v[28:29]
	v_accvgpr_read_b32 v8, a44
	ds_write2_b64 v8, v[10:11], v[12:13] offset1:1
	v_pk_add_f32 v[12:13], v[248:249], v[28:29]
	v_pk_add_f32 v[10:11], v[160:161], v[248:249] neg_lo:[0,1] neg_hi:[0,1]
	v_pk_fma_f32 v[12:13], v[12:13], 0.5, v[152:153] op_sel_hi:[1,0,1] neg_lo:[1,0,0] neg_hi:[1,0,0]
	v_pk_add_f32 v[10:11], v[10:11], v[14:15]
	v_pk_add_f32 v[14:15], v[12:13], v[6:7] op_sel:[0,1] op_sel_hi:[1,0]
	v_pk_add_f32 v[6:7], v[12:13], v[6:7] op_sel:[0,1] op_sel_hi:[1,0] neg_lo:[0,1] neg_hi:[0,1]
	v_mov_b32_e32 v3, v9
	v_pk_add_f32 v[6:7], v[6:7], v[4:5] op_sel:[0,1] op_sel_hi:[1,0]
	v_pk_add_f32 v[4:5], v[14:15], v[4:5] op_sel:[0,1] op_sel_hi:[1,0] neg_lo:[0,1] neg_hi:[0,1]
	v_mov_b32_e32 v13, v7
	v_mov_b32_e32 v12, v4
	;; [unrolled: 1-line block ×3, first 2 shown]
	v_pk_fma_f32 v[4:5], v[10:11], s[2:3], v[12:13] op_sel_hi:[1,0,1]
	v_pk_fma_f32 v[6:7], v[10:11], s[2:3], v[6:7] op_sel_hi:[1,0,1]
	;; [unrolled: 1-line block ×3, first 2 shown]
	ds_write2_b64 v8, v[4:5], v[6:7] offset0:2 offset1:3
	ds_write_b64 v8, v[0:1] offset:32
	s_waitcnt lgkmcnt(0)
	s_barrier
	ds_read_b64 v[0:1], v208 offset:24000
	v_accvgpr_read_b32 v2, a92
	ds_read2_b64 v[6:9], v103 offset0:62 offset1:187
	s_waitcnt lgkmcnt(1)
	v_pk_mul_f32 v[2:3], v[2:3], v[0:1] op_sel_hi:[0,1]
	v_pk_fma_f32 v[152:153], v[180:181], v[0:1], v[2:3] op_sel:[0,0,1] op_sel_hi:[1,1,0]
	v_pk_fma_f32 v[154:155], v[180:181], v[0:1], v[2:3] op_sel:[0,0,1] op_sel_hi:[0,1,0] neg_lo:[0,0,1] neg_hi:[0,0,1]
	ds_read2_b64 v[0:3], v209 offset0:74 offset1:199
	v_mov_b32_e32 v153, v155
	s_waitcnt lgkmcnt(0)
	v_pk_mul_f32 v[4:5], v[178:179], v[2:3] op_sel:[1,0]
	s_nop 0
	v_pk_fma_f32 v[22:23], v[178:179], v[2:3], v[4:5] op_sel:[0,0,1] op_sel_hi:[1,1,0]
	v_pk_fma_f32 v[20:21], v[178:179], v[2:3], v[4:5] op_sel:[0,0,1] op_sel_hi:[0,1,0] neg_lo:[0,0,1] neg_hi:[0,0,1]
	v_pk_mul_f32 v[2:3], v[182:183], v[0:1] op_sel:[1,0]
	v_mov_b32_e32 v23, v21
	v_pk_fma_f32 v[156:157], v[182:183], v[0:1], v[2:3] op_sel:[0,0,1] op_sel_hi:[1,1,0]
	v_pk_fma_f32 v[2:3], v[182:183], v[0:1], v[2:3] op_sel:[0,0,1] op_sel_hi:[0,1,0] neg_lo:[0,0,1] neg_hi:[0,0,1]
	v_mov_b32_e32 v0, v185
	v_pk_mul_f32 v[4:5], v[0:1], v[8:9] op_sel_hi:[0,1]
	v_mov_b32_e32 v2, v189
	v_pk_fma_f32 v[0:1], v[184:185], v[8:9], v[4:5] op_sel:[0,0,1] op_sel_hi:[1,1,0]
	v_pk_fma_f32 v[16:17], v[184:185], v[8:9], v[4:5] op_sel:[0,0,1] op_sel_hi:[0,1,0] neg_lo:[0,0,1] neg_hi:[0,0,1]
	v_pk_mul_f32 v[8:9], v[2:3], v[6:7] op_sel_hi:[0,1]
	v_pk_fma_f32 v[4:5], v[188:189], v[6:7], v[8:9] op_sel:[0,0,1] op_sel_hi:[1,1,0]
	v_pk_fma_f32 v[18:19], v[188:189], v[6:7], v[8:9] op_sel:[0,0,1] op_sel_hi:[0,1,0] neg_lo:[0,0,1] neg_hi:[0,0,1]
	ds_read2_b64 v[6:9], v151 offset0:80 offset1:205
	v_mov_b32_e32 v2, v169
	v_accvgpr_read_b32 v1, a49
	v_mov_b32_e32 v5, v19
	v_mov_b32_e32 v157, v3
	s_waitcnt lgkmcnt(0)
	v_pk_mul_f32 v[10:11], v[186:187], v[8:9] op_sel:[1,0]
	s_nop 0
	v_pk_fma_f32 v[28:29], v[186:187], v[8:9], v[10:11] op_sel:[0,0,1] op_sel_hi:[1,1,0]
	v_pk_fma_f32 v[30:31], v[186:187], v[8:9], v[10:11] op_sel:[0,0,1] op_sel_hi:[0,1,0] neg_lo:[0,0,1] neg_hi:[0,0,1]
	v_pk_mul_f32 v[8:9], v[166:167], v[6:7] op_sel:[1,0]
	v_mov_b32_e32 v29, v31
	v_pk_fma_f32 v[32:33], v[166:167], v[6:7], v[8:9] op_sel:[0,0,1] op_sel_hi:[1,1,0]
	v_pk_fma_f32 v[158:159], v[166:167], v[6:7], v[8:9] op_sel:[0,0,1] op_sel_hi:[0,1,0] neg_lo:[0,0,1] neg_hi:[0,0,1]
	ds_read2_b64 v[6:9], v107 offset0:68 offset1:193
	v_mov_b32_e32 v33, v159
	s_waitcnt lgkmcnt(0)
	v_pk_mul_f32 v[10:11], v[2:3], v[8:9] op_sel_hi:[0,1]
	v_accvgpr_read_b32 v2, a64
	v_pk_fma_f32 v[160:161], v[168:169], v[8:9], v[10:11] op_sel:[0,0,1] op_sel_hi:[1,1,0]
	v_pk_fma_f32 v[162:163], v[168:169], v[8:9], v[10:11] op_sel:[0,0,1] op_sel_hi:[0,1,0] neg_lo:[0,0,1] neg_hi:[0,0,1]
	v_pk_mul_f32 v[8:9], v[2:3], v[6:7] op_sel_hi:[0,1]
	v_pk_fma_f32 v[164:165], v[38:39], v[6:7], v[8:9] op_sel:[0,0,1] op_sel_hi:[1,1,0]
	v_pk_fma_f32 v[10:11], v[38:39], v[6:7], v[8:9] op_sel:[0,0,1] op_sel_hi:[0,1,0] neg_lo:[0,0,1] neg_hi:[0,0,1]
	ds_read2_b64 v[6:9], v181 offset0:86 offset1:211
	v_mov_b32_e32 v2, v201
	v_mov_b32_e32 v165, v11
	;; [unrolled: 1-line block ×3, first 2 shown]
	v_pk_add_f32 v[158:159], v[160:161], v[32:33] neg_lo:[0,1] neg_hi:[0,1]
	s_waitcnt lgkmcnt(0)
	v_pk_mul_f32 v[12:13], v[36:37], v[8:9] op_sel:[1,0]
	s_nop 0
	v_pk_fma_f32 v[166:167], v[36:37], v[8:9], v[12:13] op_sel:[0,0,1] op_sel_hi:[1,1,0]
	v_pk_fma_f32 v[24:25], v[36:37], v[8:9], v[12:13] op_sel:[0,0,1] op_sel_hi:[0,1,0] neg_lo:[0,0,1] neg_hi:[0,0,1]
	v_pk_mul_f32 v[8:9], v[2:3], v[6:7] op_sel_hi:[0,1]
	v_pk_fma_f32 v[12:13], v[200:201], v[6:7], v[8:9] op_sel:[0,0,1] op_sel_hi:[1,1,0]
	v_pk_fma_f32 v[36:37], v[200:201], v[6:7], v[8:9] op_sel:[0,0,1] op_sel_hi:[0,1,0] neg_lo:[0,0,1] neg_hi:[0,0,1]
	ds_read2_b64 v[6:9], v205 offset0:104 offset1:229
	v_mov_b32_e32 v2, v197
	v_mov_b32_e32 v167, v25
	v_pk_add_f32 v[10:11], v[164:165], v[166:167] neg_lo:[0,1] neg_hi:[0,1]
	v_mov_b32_e32 v13, v37
	s_waitcnt lgkmcnt(0)
	v_pk_mul_f32 v[26:27], v[198:199], v[8:9] op_sel:[1,0]
	s_nop 0
	v_pk_fma_f32 v[14:15], v[198:199], v[8:9], v[26:27] op_sel:[0,0,1] op_sel_hi:[1,1,0]
	v_pk_fma_f32 v[168:169], v[198:199], v[8:9], v[26:27] op_sel:[0,0,1] op_sel_hi:[0,1,0] neg_lo:[0,0,1] neg_hi:[0,0,1]
	v_pk_mul_f32 v[8:9], v[194:195], v[6:7] op_sel:[1,0]
	v_mov_b32_e32 v15, v169
	v_pk_fma_f32 v[178:179], v[194:195], v[6:7], v[8:9] op_sel:[0,0,1] op_sel_hi:[1,1,0]
	v_pk_fma_f32 v[180:181], v[194:195], v[6:7], v[8:9] op_sel:[0,0,1] op_sel_hi:[0,1,0] neg_lo:[0,0,1] neg_hi:[0,0,1]
	ds_read2_b64 v[6:9], v111 offset0:92 offset1:217
	v_mov_b32_e32 v179, v181
	s_waitcnt lgkmcnt(0)
	v_pk_mul_f32 v[26:27], v[2:3], v[8:9] op_sel_hi:[0,1]
	v_mov_b32_e32 v2, v193
	v_pk_fma_f32 v[182:183], v[196:197], v[8:9], v[26:27] op_sel:[0,0,1] op_sel_hi:[1,1,0]
	v_pk_fma_f32 v[184:185], v[196:197], v[8:9], v[26:27] op_sel:[0,0,1] op_sel_hi:[0,1,0] neg_lo:[0,0,1] neg_hi:[0,0,1]
	v_pk_mul_f32 v[8:9], v[2:3], v[6:7] op_sel_hi:[0,1]
	v_pk_fma_f32 v[186:187], v[192:193], v[6:7], v[8:9] op_sel:[0,0,1] op_sel_hi:[1,1,0]
	v_pk_fma_f32 v[188:189], v[192:193], v[6:7], v[8:9] op_sel:[0,0,1] op_sel_hi:[0,1,0] neg_lo:[0,0,1] neg_hi:[0,0,1]
	ds_read2_b64 v[6:9], v207 offset0:110 offset1:235
	v_mov_b32_e32 v2, v177
	v_mov_b32_e32 v187, v189
	v_mov_b32_e32 v183, v185
	s_waitcnt lgkmcnt(0)
	v_pk_mul_f32 v[26:27], v[190:191], v[8:9] op_sel:[1,0]
	s_nop 0
	v_pk_fma_f32 v[192:193], v[190:191], v[8:9], v[26:27] op_sel:[0,0,1] op_sel_hi:[1,1,0]
	v_pk_fma_f32 v[190:191], v[190:191], v[8:9], v[26:27] op_sel:[0,0,1] op_sel_hi:[0,1,0] neg_lo:[0,0,1] neg_hi:[0,0,1]
	v_pk_mul_f32 v[8:9], v[174:175], v[6:7] op_sel:[1,0]
	v_mov_b32_e32 v193, v191
	v_pk_fma_f32 v[194:195], v[174:175], v[6:7], v[8:9] op_sel:[0,0,1] op_sel_hi:[1,1,0]
	v_pk_fma_f32 v[174:175], v[174:175], v[6:7], v[8:9] op_sel:[0,0,1] op_sel_hi:[0,1,0] neg_lo:[0,0,1] neg_hi:[0,0,1]
	ds_read2_b64 v[6:9], v115 offset0:98 offset1:223
	v_mov_b32_e32 v195, v175
	v_pk_add_f32 v[162:163], v[194:195], v[160:161] neg_lo:[0,1] neg_hi:[0,1]
	v_pk_add_f32 v[18:19], v[192:193], v[4:5] neg_lo:[0,1] neg_hi:[0,1]
	s_waitcnt lgkmcnt(0)
	v_pk_mul_f32 v[26:27], v[2:3], v[8:9] op_sel_hi:[0,1]
	v_accvgpr_read_b32 v2, a56
	v_pk_fma_f32 v[196:197], v[176:177], v[8:9], v[26:27] op_sel:[0,0,1] op_sel_hi:[1,1,0]
	v_pk_fma_f32 v[176:177], v[176:177], v[8:9], v[26:27] op_sel:[0,0,1] op_sel_hi:[0,1,0] neg_lo:[0,0,1] neg_hi:[0,0,1]
	v_pk_mul_f32 v[8:9], v[2:3], v[6:7] op_sel_hi:[0,1]
	v_pk_fma_f32 v[198:199], v[172:173], v[6:7], v[8:9] op_sel:[0,0,1] op_sel_hi:[1,1,0]
	v_pk_fma_f32 v[26:27], v[172:173], v[6:7], v[8:9] op_sel:[0,0,1] op_sel_hi:[0,1,0] neg_lo:[0,0,1] neg_hi:[0,0,1]
	ds_read2_b64 v[6:9], v79 offset0:116 offset1:241
	v_mov_b32_e32 v199, v27
	v_pk_add_f32 v[24:25], v[198:199], v[166:167]
	v_pk_add_f32 v[226:227], v[198:199], v[166:167] neg_lo:[0,1] neg_hi:[0,1]
	v_mov_b32_e32 v197, v177
	s_waitcnt lgkmcnt(0)
	v_pk_mul_f32 v[200:201], v[170:171], v[8:9] op_sel:[1,0]
	v_pk_add_f32 v[2:3], v[178:179], v[182:183] neg_lo:[0,1] neg_hi:[0,1]
	v_pk_fma_f32 v[202:203], v[170:171], v[8:9], v[200:201] op_sel:[0,0,1] op_sel_hi:[1,1,0]
	v_pk_fma_f32 v[8:9], v[170:171], v[8:9], v[200:201] op_sel:[0,0,1] op_sel_hi:[0,1,0] neg_lo:[0,0,1] neg_hi:[0,0,1]
	v_mov_b32_e32 v203, v9
	v_pk_add_f32 v[8:9], v[202:203], v[198:199] neg_lo:[0,1] neg_hi:[0,1]
	v_pk_add_f32 v[200:201], v[202:203], v[164:165] neg_lo:[0,1] neg_hi:[0,1]
	v_pk_add_f32 v[170:171], v[8:9], v[10:11]
	ds_read2_b64 v[8:11], v208 offset1:125
	v_pk_mul_f32 v[26:27], v[200:201], s[6:7] op_sel_hi:[1,0]
	s_waitcnt lgkmcnt(0)
	v_pk_fma_f32 v[24:25], v[24:25], 0.5, v[8:9] op_sel_hi:[1,0,1] neg_lo:[1,0,0] neg_hi:[1,0,0]
	s_nop 0
	v_pk_add_f32 v[222:223], v[24:25], v[26:27] op_sel:[0,1] op_sel_hi:[1,0] neg_lo:[0,1] neg_hi:[0,1]
	v_pk_add_f32 v[24:25], v[24:25], v[26:27] op_sel:[0,1] op_sel_hi:[1,0]
	v_pk_mul_f32 v[26:27], v[226:227], s[8:9] op_sel_hi:[1,0]
	s_nop 0
	v_pk_add_f32 v[228:229], v[24:25], v[26:27] op_sel:[0,1] op_sel_hi:[1,0]
	v_pk_add_f32 v[24:25], v[8:9], v[202:203]
	v_pk_add_f32 v[222:223], v[222:223], v[26:27] op_sel:[0,1] op_sel_hi:[1,0] neg_lo:[0,1] neg_hi:[0,1]
	v_pk_add_f32 v[24:25], v[24:25], v[198:199]
	v_pk_add_f32 v[198:199], v[198:199], v[202:203] neg_lo:[0,1] neg_hi:[0,1]
	v_pk_add_f32 v[24:25], v[24:25], v[166:167]
	v_pk_add_f32 v[202:203], v[202:203], v[164:165]
	;; [unrolled: 1-line block ×3, first 2 shown]
	v_pk_add_f32 v[164:165], v[166:167], v[164:165] neg_lo:[0,1] neg_hi:[0,1]
	v_pk_fma_f32 v[8:9], v[202:203], 0.5, v[8:9] op_sel_hi:[1,0,1] neg_lo:[1,0,0] neg_hi:[1,0,0]
	v_pk_mul_f32 v[166:167], v[226:227], s[6:7] op_sel_hi:[1,0]
	v_pk_add_f32 v[164:165], v[198:199], v[164:165]
	v_pk_add_f32 v[198:199], v[8:9], v[166:167] op_sel:[0,1] op_sel_hi:[1,0]
	v_pk_add_f32 v[8:9], v[8:9], v[166:167] op_sel:[0,1] op_sel_hi:[1,0] neg_lo:[0,1] neg_hi:[0,1]
	v_pk_mul_f32 v[166:167], v[200:201], s[8:9] op_sel_hi:[1,0]
	v_mov_b32_e32 v235, v229
	v_pk_add_f32 v[8:9], v[8:9], v[166:167] op_sel:[0,1] op_sel_hi:[1,0]
	v_pk_add_f32 v[166:167], v[198:199], v[166:167] op_sel:[0,1] op_sel_hi:[1,0] neg_lo:[0,1] neg_hi:[0,1]
	v_mov_b32_e32 v199, v9
	v_mov_b32_e32 v198, v166
	;; [unrolled: 1-line block ×3, first 2 shown]
	v_pk_fma_f32 v[166:167], v[164:165], s[2:3], v[198:199] op_sel_hi:[1,0,1]
	v_pk_fma_f32 v[8:9], v[164:165], s[2:3], v[8:9] op_sel_hi:[1,0,1]
	v_mov_b32_e32 v229, v223
	ds_read2_b64 v[24:27], v206 offset0:122 offset1:247
	s_waitcnt lgkmcnt(0)
	s_barrier
	ds_write2_b64 v1, v[166:167], v[8:9] offset0:10 offset1:15
	v_pk_fma_f32 v[8:9], v[170:171], s[2:3], v[228:229] op_sel_hi:[1,0,1]
	ds_write_b64 v1, v[8:9] offset:160
	v_pk_add_f32 v[8:9], v[194:195], v[196:197] neg_lo:[0,1] neg_hi:[0,1]
	v_pk_mul_f32 v[164:165], v[162:163], s[6:7] op_sel_hi:[1,0]
	v_pk_add_f32 v[8:9], v[8:9], v[158:159]
	v_pk_add_f32 v[158:159], v[196:197], v[32:33]
	v_mov_b32_e32 v234, v222
	v_pk_fma_f32 v[158:159], v[158:159], 0.5, v[10:11] op_sel_hi:[1,0,1] neg_lo:[1,0,0] neg_hi:[1,0,0]
	v_pk_fma_f32 v[234:235], v[170:171], s[2:3], v[234:235] op_sel_hi:[1,0,1]
	v_pk_add_f32 v[166:167], v[158:159], v[164:165] op_sel:[0,1] op_sel_hi:[1,0] neg_lo:[0,1] neg_hi:[0,1]
	v_pk_add_f32 v[158:159], v[158:159], v[164:165] op_sel:[0,1] op_sel_hi:[1,0]
	v_pk_add_f32 v[164:165], v[196:197], v[32:33] neg_lo:[0,1] neg_hi:[0,1]
	ds_write2_b64 v1, v[232:233], v[234:235] offset1:5
	v_pk_mul_f32 v[170:171], v[164:165], s[8:9] op_sel_hi:[1,0]
	v_accvgpr_read_b32 v1, a51
	v_pk_add_f32 v[158:159], v[158:159], v[170:171] op_sel:[0,1] op_sel_hi:[1,0]
	v_pk_add_f32 v[166:167], v[166:167], v[170:171] op_sel:[0,1] op_sel_hi:[1,0] neg_lo:[0,1] neg_hi:[0,1]
	v_pk_add_f32 v[170:171], v[10:11], v[194:195]
	v_mov_b32_e32 v174, v166
	v_pk_add_f32 v[170:171], v[170:171], v[196:197]
	v_mov_b32_e32 v175, v159
	v_pk_add_f32 v[170:171], v[170:171], v[32:33]
	v_pk_fma_f32 v[174:175], v[8:9], s[2:3], v[174:175] op_sel_hi:[1,0,1]
	v_pk_add_f32 v[170:171], v[170:171], v[160:161]
	ds_write2_b64 v39, v[170:171], v[174:175] offset1:5
	v_pk_add_f32 v[170:171], v[194:195], v[160:161]
	v_pk_add_f32 v[32:33], v[32:33], v[160:161] neg_lo:[0,1] neg_hi:[0,1]
	v_pk_fma_f32 v[10:11], v[170:171], 0.5, v[10:11] op_sel_hi:[1,0,1] neg_lo:[1,0,0] neg_hi:[1,0,0]
	v_pk_mul_f32 v[160:161], v[164:165], s[6:7] op_sel_hi:[1,0]
	v_pk_add_f32 v[170:171], v[196:197], v[194:195] neg_lo:[0,1] neg_hi:[0,1]
	v_pk_add_f32 v[164:165], v[10:11], v[160:161] op_sel:[0,1] op_sel_hi:[1,0]
	v_pk_add_f32 v[10:11], v[10:11], v[160:161] op_sel:[0,1] op_sel_hi:[1,0] neg_lo:[0,1] neg_hi:[0,1]
	v_pk_mul_f32 v[160:161], v[162:163], s[8:9] op_sel_hi:[1,0]
	v_pk_add_f32 v[32:33], v[170:171], v[32:33]
	v_pk_add_f32 v[10:11], v[10:11], v[160:161] op_sel:[0,1] op_sel_hi:[1,0]
	v_pk_add_f32 v[160:161], v[164:165], v[160:161] op_sel:[0,1] op_sel_hi:[1,0] neg_lo:[0,1] neg_hi:[0,1]
	v_mov_b32_e32 v163, v11
	v_mov_b32_e32 v162, v160
	;; [unrolled: 1-line block ×4, first 2 shown]
	v_pk_fma_f32 v[160:161], v[32:33], s[2:3], v[162:163] op_sel_hi:[1,0,1]
	v_pk_fma_f32 v[10:11], v[32:33], s[2:3], v[10:11] op_sel_hi:[1,0,1]
	;; [unrolled: 1-line block ×3, first 2 shown]
	ds_write2_b64 v39, v[160:161], v[10:11] offset0:10 offset1:15
	ds_write_b64 v39, v[8:9] offset:160
	v_pk_add_f32 v[8:9], v[192:193], v[186:187] neg_lo:[0,1] neg_hi:[0,1]
	v_pk_add_f32 v[10:11], v[4:5], v[28:29] neg_lo:[0,1] neg_hi:[0,1]
	;; [unrolled: 1-line block ×3, first 2 shown]
	v_pk_add_f32 v[8:9], v[8:9], v[10:11]
	v_pk_add_f32 v[10:11], v[186:187], v[28:29]
	;; [unrolled: 1-line block ×3, first 2 shown]
	v_pk_fma_f32 v[10:11], v[10:11], 0.5, v[24:25] op_sel_hi:[1,0,1] neg_lo:[1,0,0] neg_hi:[1,0,0]
	v_pk_add_f32 v[38:39], v[38:39], v[186:187]
	v_pk_fma_f32 v[30:31], v[18:19], s[6:7], v[10:11] op_sel:[1,0,0] op_sel_hi:[0,0,1]
	v_pk_fma_f32 v[10:11], v[18:19], s[6:7], v[10:11] op_sel:[1,0,0] op_sel_hi:[0,0,1] neg_lo:[1,0,0] neg_hi:[1,0,0]
	v_pk_fma_f32 v[10:11], v[32:33], s[8:9], v[10:11] op_sel:[1,0,0] op_sel_hi:[0,0,1] neg_lo:[1,0,0] neg_hi:[1,0,0]
	v_pk_fma_f32 v[30:31], v[32:33], s[8:9], v[30:31] op_sel:[1,0,0] op_sel_hi:[0,0,1]
	v_pk_add_f32 v[38:39], v[38:39], v[28:29]
	v_mov_b32_e32 v159, v11
	v_mov_b32_e32 v11, v31
	v_pk_add_f32 v[38:39], v[38:39], v[4:5]
	v_pk_fma_f32 v[10:11], v[8:9], s[2:3], v[10:11] op_sel_hi:[1,0,1]
	ds_write2_b64 v1, v[38:39], v[10:11] offset1:5
	v_pk_add_f32 v[10:11], v[186:187], v[192:193] neg_lo:[0,1] neg_hi:[0,1]
	v_pk_add_f32 v[38:39], v[192:193], v[4:5]
	v_pk_add_f32 v[4:5], v[28:29], v[4:5] neg_lo:[0,1] neg_hi:[0,1]
	v_mov_b32_e32 v158, v30
	v_pk_add_f32 v[4:5], v[10:11], v[4:5]
	v_pk_fma_f32 v[10:11], v[38:39], 0.5, v[24:25] op_sel_hi:[1,0,1] neg_lo:[1,0,0] neg_hi:[1,0,0]
	s_nop 0
	v_pk_fma_f32 v[24:25], v[32:33], s[6:7], v[10:11] op_sel:[1,0,0] op_sel_hi:[0,0,1] neg_lo:[1,0,0] neg_hi:[1,0,0]
	v_pk_fma_f32 v[10:11], v[32:33], s[6:7], v[10:11] op_sel:[1,0,0] op_sel_hi:[0,0,1]
	v_pk_fma_f32 v[10:11], v[18:19], s[8:9], v[10:11] op_sel:[1,0,0] op_sel_hi:[0,0,1] neg_lo:[1,0,0] neg_hi:[1,0,0]
	v_pk_fma_f32 v[18:19], v[18:19], s[8:9], v[24:25] op_sel:[1,0,0] op_sel_hi:[0,0,1]
	v_mov_b32_e32 v24, v18
	v_mov_b32_e32 v25, v11
	;; [unrolled: 1-line block ×3, first 2 shown]
	v_pk_fma_f32 v[18:19], v[4:5], s[2:3], v[24:25] op_sel_hi:[1,0,1]
	v_pk_fma_f32 v[4:5], v[4:5], s[2:3], v[10:11] op_sel_hi:[1,0,1]
	ds_write2_b64 v1, v[4:5], v[18:19] offset0:10 offset1:15
	v_pk_fma_f32 v[4:5], v[8:9], s[2:3], v[158:159] op_sel_hi:[1,0,1]
	ds_write_b64 v1, v[4:5] offset:160
	v_mov_b32_e32 v1, v17
	v_pk_add_f32 v[4:5], v[0:1], v[156:157] neg_lo:[0,1] neg_hi:[0,1]
	v_pk_add_f32 v[8:9], v[178:179], v[0:1] neg_lo:[0,1] neg_hi:[0,1]
	v_pk_add_f32 v[2:3], v[2:3], v[4:5]
	v_pk_add_f32 v[4:5], v[182:183], v[156:157]
	v_pk_add_f32 v[16:17], v[182:183], v[156:157] neg_lo:[0,1] neg_hi:[0,1]
	v_pk_fma_f32 v[4:5], v[4:5], 0.5, v[26:27] op_sel_hi:[1,0,1] neg_lo:[1,0,0] neg_hi:[1,0,0]
	v_pk_add_f32 v[18:19], v[26:27], v[178:179]
	v_pk_fma_f32 v[10:11], v[8:9], s[6:7], v[4:5] op_sel:[1,0,0] op_sel_hi:[0,0,1]
	v_pk_fma_f32 v[4:5], v[8:9], s[6:7], v[4:5] op_sel:[1,0,0] op_sel_hi:[0,0,1] neg_lo:[1,0,0] neg_hi:[1,0,0]
	v_pk_fma_f32 v[4:5], v[16:17], s[8:9], v[4:5] op_sel:[1,0,0] op_sel_hi:[0,0,1] neg_lo:[1,0,0] neg_hi:[1,0,0]
	v_pk_fma_f32 v[10:11], v[16:17], s[8:9], v[10:11] op_sel:[1,0,0] op_sel_hi:[0,0,1]
	v_pk_add_f32 v[18:19], v[18:19], v[182:183]
	v_mov_b32_e32 v25, v5
	v_pk_add_f32 v[18:19], v[18:19], v[156:157]
	v_mov_b32_e32 v5, v11
	v_pk_add_f32 v[18:19], v[18:19], v[0:1]
	v_pk_fma_f32 v[4:5], v[2:3], s[2:3], v[4:5] op_sel_hi:[1,0,1]
	ds_write2_b64 v35, v[18:19], v[4:5] offset1:5
	v_pk_add_f32 v[4:5], v[178:179], v[0:1]
	v_pk_add_f32 v[18:19], v[182:183], v[178:179] neg_lo:[0,1] neg_hi:[0,1]
	v_pk_fma_f32 v[4:5], v[4:5], 0.5, v[26:27] op_sel_hi:[1,0,1] neg_lo:[1,0,0] neg_hi:[1,0,0]
	v_pk_add_f32 v[0:1], v[156:157], v[0:1] neg_lo:[0,1] neg_hi:[0,1]
	v_mov_b32_e32 v24, v10
	v_pk_add_f32 v[0:1], v[18:19], v[0:1]
	v_pk_fma_f32 v[18:19], v[16:17], s[6:7], v[4:5] op_sel:[1,0,0] op_sel_hi:[0,0,1] neg_lo:[1,0,0] neg_hi:[1,0,0]
	v_pk_fma_f32 v[4:5], v[16:17], s[6:7], v[4:5] op_sel:[1,0,0] op_sel_hi:[0,0,1]
	v_pk_fma_f32 v[4:5], v[8:9], s[8:9], v[4:5] op_sel:[1,0,0] op_sel_hi:[0,0,1] neg_lo:[1,0,0] neg_hi:[1,0,0]
	v_pk_fma_f32 v[8:9], v[8:9], s[8:9], v[18:19] op_sel:[1,0,0] op_sel_hi:[0,0,1]
	v_mov_b32_e32 v16, v8
	v_mov_b32_e32 v17, v5
	;; [unrolled: 1-line block ×3, first 2 shown]
	v_pk_fma_f32 v[8:9], v[0:1], s[2:3], v[16:17] op_sel_hi:[1,0,1]
	v_pk_fma_f32 v[0:1], v[0:1], s[2:3], v[4:5] op_sel_hi:[1,0,1]
	ds_write2_b64 v35, v[0:1], v[8:9] offset0:10 offset1:15
	v_pk_fma_f32 v[0:1], v[2:3], s[2:3], v[24:25] op_sel_hi:[1,0,1]
	ds_write_b64 v35, v[0:1] offset:160
	v_pk_add_f32 v[0:1], v[14:15], v[12:13] neg_lo:[0,1] neg_hi:[0,1]
	v_pk_add_f32 v[2:3], v[152:153], v[22:23] neg_lo:[0,1] neg_hi:[0,1]
	;; [unrolled: 1-line block ×3, first 2 shown]
	v_pk_add_f32 v[0:1], v[0:1], v[2:3]
	v_pk_add_f32 v[2:3], v[12:13], v[22:23]
	v_pk_add_f32 v[10:11], v[12:13], v[22:23] neg_lo:[0,1] neg_hi:[0,1]
	v_pk_fma_f32 v[2:3], v[2:3], 0.5, v[6:7] op_sel_hi:[1,0,1] neg_lo:[1,0,0] neg_hi:[1,0,0]
	v_pk_add_f32 v[16:17], v[6:7], v[14:15]
	v_pk_fma_f32 v[8:9], v[4:5], s[6:7], v[2:3] op_sel:[1,0,0] op_sel_hi:[0,0,1]
	v_pk_fma_f32 v[2:3], v[4:5], s[6:7], v[2:3] op_sel:[1,0,0] op_sel_hi:[0,0,1] neg_lo:[1,0,0] neg_hi:[1,0,0]
	v_pk_fma_f32 v[2:3], v[10:11], s[8:9], v[2:3] op_sel:[1,0,0] op_sel_hi:[0,0,1] neg_lo:[1,0,0] neg_hi:[1,0,0]
	v_pk_fma_f32 v[8:9], v[10:11], s[8:9], v[8:9] op_sel:[1,0,0] op_sel_hi:[0,0,1]
	v_pk_add_f32 v[16:17], v[16:17], v[12:13]
	v_mov_b32_e32 v19, v3
	v_pk_add_f32 v[16:17], v[16:17], v[22:23]
	v_mov_b32_e32 v3, v9
	v_pk_add_f32 v[16:17], v[16:17], v[152:153]
	v_pk_fma_f32 v[2:3], v[0:1], s[2:3], v[2:3] op_sel_hi:[1,0,1]
	ds_write2_b64 v173, v[16:17], v[2:3] offset1:5
	v_pk_add_f32 v[2:3], v[14:15], v[152:153]
	v_mov_b32_e32 v18, v8
	v_pk_fma_f32 v[2:3], v[2:3], 0.5, v[6:7] op_sel_hi:[1,0,1] neg_lo:[1,0,0] neg_hi:[1,0,0]
	v_pk_add_f32 v[6:7], v[12:13], v[14:15] neg_lo:[0,1] neg_hi:[0,1]
	v_pk_add_f32 v[12:13], v[22:23], v[152:153] neg_lo:[0,1] neg_hi:[0,1]
	v_pk_fma_f32 v[0:1], v[0:1], s[2:3], v[18:19] op_sel_hi:[1,0,1]
	v_pk_add_f32 v[6:7], v[6:7], v[12:13]
	v_pk_fma_f32 v[12:13], v[10:11], s[6:7], v[2:3] op_sel:[1,0,0] op_sel_hi:[0,0,1] neg_lo:[1,0,0] neg_hi:[1,0,0]
	v_pk_fma_f32 v[2:3], v[10:11], s[6:7], v[2:3] op_sel:[1,0,0] op_sel_hi:[0,0,1]
	v_pk_fma_f32 v[2:3], v[4:5], s[8:9], v[2:3] op_sel:[1,0,0] op_sel_hi:[0,0,1] neg_lo:[1,0,0] neg_hi:[1,0,0]
	v_pk_fma_f32 v[4:5], v[4:5], s[8:9], v[12:13] op_sel:[1,0,0] op_sel_hi:[0,0,1]
	v_mov_b32_e32 v10, v4
	v_mov_b32_e32 v11, v3
	;; [unrolled: 1-line block ×3, first 2 shown]
	v_pk_fma_f32 v[4:5], v[6:7], s[2:3], v[10:11] op_sel_hi:[1,0,1]
	v_pk_fma_f32 v[2:3], v[6:7], s[2:3], v[2:3] op_sel_hi:[1,0,1]
	ds_write2_b64 v173, v[2:3], v[4:5] offset0:10 offset1:15
	ds_write_b64 v173, v[0:1] offset:160
	s_waitcnt lgkmcnt(0)
	s_barrier
	ds_read_b64 v[2:3], v208 offset:24000
	ds_read2_b64 v[10:13], v209 offset0:74 offset1:199
	ds_read2_b64 v[16:19], v103 offset0:62 offset1:187
	v_accvgpr_read_b32 v0, a114
	s_waitcnt lgkmcnt(2)
	v_pk_mul_f32 v[4:5], v[0:1], v[2:3] op_sel_hi:[0,1]
	v_pk_fma_f32 v[0:1], v[74:75], v[2:3], v[4:5] op_sel:[0,0,1] op_sel_hi:[1,1,0]
	v_pk_fma_f32 v[4:5], v[74:75], v[2:3], v[4:5] op_sel:[0,0,1] op_sel_hi:[0,1,0] neg_lo:[0,0,1] neg_hi:[0,0,1]
	s_waitcnt lgkmcnt(1)
	v_pk_mul_f32 v[6:7], v[72:73], v[12:13] op_sel:[1,0]
	v_accvgpr_read_b32 v4, a86
	v_pk_fma_f32 v[2:3], v[72:73], v[12:13], v[6:7] op_sel:[0,0,1] op_sel_hi:[1,1,0]
	v_pk_fma_f32 v[6:7], v[72:73], v[12:13], v[6:7] op_sel:[0,0,1] op_sel_hi:[0,1,0] neg_lo:[0,0,1] neg_hi:[0,0,1]
	v_pk_mul_f32 v[12:13], v[64:65], v[10:11] op_sel:[1,0]
	s_waitcnt lgkmcnt(0)
	v_pk_mul_f32 v[14:15], v[4:5], v[18:19] op_sel_hi:[0,1]
	v_accvgpr_read_b32 v4, a78
	v_pk_fma_f32 v[8:9], v[64:65], v[10:11], v[12:13] op_sel:[0,0,1] op_sel_hi:[1,1,0]
	v_pk_fma_f32 v[12:13], v[64:65], v[10:11], v[12:13] op_sel:[0,0,1] op_sel_hi:[0,1,0] neg_lo:[0,0,1] neg_hi:[0,0,1]
	v_pk_fma_f32 v[10:11], v[66:67], v[18:19], v[14:15] op_sel:[0,0,1] op_sel_hi:[1,1,0]
	v_pk_fma_f32 v[14:15], v[66:67], v[18:19], v[14:15] op_sel:[0,0,1] op_sel_hi:[0,1,0] neg_lo:[0,0,1] neg_hi:[0,0,1]
	v_pk_mul_f32 v[18:19], v[4:5], v[16:17] op_sel_hi:[0,1]
	v_pk_fma_f32 v[20:21], v[78:79], v[16:17], v[18:19] op_sel:[0,0,1] op_sel_hi:[1,1,0]
	v_pk_fma_f32 v[32:33], v[78:79], v[16:17], v[18:19] op_sel:[0,0,1] op_sel_hi:[0,1,0] neg_lo:[0,0,1] neg_hi:[0,0,1]
	ds_read2_b64 v[16:19], v151 offset0:80 offset1:205
	v_accvgpr_read_b32 v4, a90
	v_mov_b32_e32 v21, v33
	v_mov_b32_e32 v9, v13
	;; [unrolled: 1-line block ×3, first 2 shown]
	s_waitcnt lgkmcnt(0)
	v_pk_mul_f32 v[22:23], v[76:77], v[18:19] op_sel:[1,0]
	v_pk_add_f32 v[14:15], v[10:11], v[8:9] neg_lo:[0,1] neg_hi:[0,1]
	v_pk_fma_f32 v[36:37], v[76:77], v[18:19], v[22:23] op_sel:[0,0,1] op_sel_hi:[1,1,0]
	v_pk_fma_f32 v[38:39], v[76:77], v[18:19], v[22:23] op_sel:[0,0,1] op_sel_hi:[0,1,0] neg_lo:[0,0,1] neg_hi:[0,0,1]
	v_pk_mul_f32 v[18:19], v[80:81], v[16:17] op_sel:[1,0]
	v_mov_b32_e32 v37, v39
	v_pk_fma_f32 v[64:65], v[80:81], v[16:17], v[18:19] op_sel:[0,0,1] op_sel_hi:[1,1,0]
	v_pk_fma_f32 v[72:73], v[80:81], v[16:17], v[18:19] op_sel:[0,0,1] op_sel_hi:[0,1,0] neg_lo:[0,0,1] neg_hi:[0,0,1]
	ds_read2_b64 v[16:19], v107 offset0:68 offset1:193
	v_mov_b32_e32 v65, v73
	v_mov_b32_e32 v3, v7
	;; [unrolled: 1-line block ×3, first 2 shown]
	v_pk_add_f32 v[6:7], v[0:1], v[2:3] neg_lo:[0,1] neg_hi:[0,1]
	s_waitcnt lgkmcnt(0)
	v_pk_mul_f32 v[22:23], v[4:5], v[18:19] op_sel_hi:[0,1]
	v_pk_fma_f32 v[76:77], v[82:83], v[18:19], v[22:23] op_sel:[0,0,1] op_sel_hi:[1,1,0]
	v_pk_fma_f32 v[80:81], v[82:83], v[18:19], v[22:23] op_sel:[0,0,1] op_sel_hi:[0,1,0] neg_lo:[0,0,1] neg_hi:[0,0,1]
	ds_read2_b64 v[22:25], v147 offset0:86 offset1:211
	v_accvgpr_read_b32 v4, a84
	v_pk_mul_f32 v[18:19], v[4:5], v[16:17] op_sel_hi:[0,1]
	v_accvgpr_read_b32 v4, a80
	v_pk_fma_f32 v[152:153], v[98:99], v[16:17], v[18:19] op_sel:[0,0,1] op_sel_hi:[1,1,0]
	v_pk_fma_f32 v[26:27], v[98:99], v[16:17], v[18:19] op_sel:[0,0,1] op_sel_hi:[0,1,0] neg_lo:[0,0,1] neg_hi:[0,0,1]
	s_waitcnt lgkmcnt(0)
	v_pk_mul_f32 v[16:17], v[96:97], v[24:25] op_sel:[1,0]
	v_pk_mul_f32 v[18:19], v[4:5], v[22:23] op_sel_hi:[0,1]
	v_pk_fma_f32 v[98:99], v[96:97], v[24:25], v[16:17] op_sel:[0,0,1] op_sel_hi:[1,1,0]
	v_pk_fma_f32 v[28:29], v[96:97], v[24:25], v[16:17] op_sel:[0,0,1] op_sel_hi:[0,1,0] neg_lo:[0,0,1] neg_hi:[0,0,1]
	v_pk_fma_f32 v[16:17], v[42:43], v[22:23], v[18:19] op_sel:[0,0,1] op_sel_hi:[1,1,0]
	v_pk_fma_f32 v[96:97], v[42:43], v[22:23], v[18:19] op_sel:[0,0,1] op_sel_hi:[0,1,0] neg_lo:[0,0,1] neg_hi:[0,0,1]
	ds_read2_b64 v[22:25], v205 offset0:104 offset1:229
	v_accvgpr_read_b32 v4, a68
	v_mov_b32_e32 v99, v29
	v_mov_b32_e32 v153, v27
	v_pk_add_f32 v[26:27], v[152:153], v[98:99] neg_lo:[0,1] neg_hi:[0,1]
	s_waitcnt lgkmcnt(0)
	v_pk_mul_f32 v[30:31], v[40:41], v[24:25] op_sel:[1,0]
	v_mov_b32_e32 v77, v81
	v_pk_fma_f32 v[18:19], v[40:41], v[24:25], v[30:31] op_sel:[0,0,1] op_sel_hi:[1,1,0]
	v_pk_fma_f32 v[40:41], v[40:41], v[24:25], v[30:31] op_sel:[0,0,1] op_sel_hi:[0,1,0] neg_lo:[0,0,1] neg_hi:[0,0,1]
	v_pk_mul_f32 v[24:25], v[44:45], v[22:23] op_sel:[1,0]
	v_mov_b32_e32 v19, v41
	v_pk_fma_f32 v[154:155], v[44:45], v[22:23], v[24:25] op_sel:[0,0,1] op_sel_hi:[1,1,0]
	v_pk_fma_f32 v[44:45], v[44:45], v[22:23], v[24:25] op_sel:[0,0,1] op_sel_hi:[0,1,0] neg_lo:[0,0,1] neg_hi:[0,0,1]
	ds_read2_b64 v[22:25], v111 offset0:92 offset1:217
	v_mov_b32_e32 v155, v45
	v_mov_b32_e32 v17, v97
	s_waitcnt lgkmcnt(0)
	v_pk_mul_f32 v[30:31], v[4:5], v[24:25] op_sel_hi:[0,1]
	v_accvgpr_read_b32 v4, a70
	v_pk_fma_f32 v[156:157], v[46:47], v[24:25], v[30:31] op_sel:[0,0,1] op_sel_hi:[1,1,0]
	v_pk_fma_f32 v[158:159], v[46:47], v[24:25], v[30:31] op_sel:[0,0,1] op_sel_hi:[0,1,0] neg_lo:[0,0,1] neg_hi:[0,0,1]
	v_pk_mul_f32 v[24:25], v[4:5], v[22:23] op_sel_hi:[0,1]
	v_pk_fma_f32 v[160:161], v[50:51], v[22:23], v[24:25] op_sel:[0,0,1] op_sel_hi:[1,1,0]
	v_pk_fma_f32 v[162:163], v[50:51], v[22:23], v[24:25] op_sel:[0,0,1] op_sel_hi:[0,1,0] neg_lo:[0,0,1] neg_hi:[0,0,1]
	ds_read2_b64 v[22:25], v207 offset0:110 offset1:235
	v_accvgpr_read_b32 v4, a72
	v_mov_b32_e32 v161, v163
	v_mov_b32_e32 v157, v159
	v_pk_add_f32 v[12:13], v[154:155], v[156:157] neg_lo:[0,1] neg_hi:[0,1]
	s_waitcnt lgkmcnt(0)
	v_pk_mul_f32 v[30:31], v[48:49], v[24:25] op_sel:[1,0]
	v_pk_add_f32 v[12:13], v[12:13], v[14:15]
	v_pk_fma_f32 v[164:165], v[48:49], v[24:25], v[30:31] op_sel:[0,0,1] op_sel_hi:[1,1,0]
	v_pk_fma_f32 v[48:49], v[48:49], v[24:25], v[30:31] op_sel:[0,0,1] op_sel_hi:[0,1,0] neg_lo:[0,0,1] neg_hi:[0,0,1]
	v_pk_mul_f32 v[24:25], v[60:61], v[22:23] op_sel:[1,0]
	v_mov_b32_e32 v165, v49
	v_pk_fma_f32 v[166:167], v[60:61], v[22:23], v[24:25] op_sel:[0,0,1] op_sel_hi:[1,1,0]
	v_pk_fma_f32 v[60:61], v[60:61], v[22:23], v[24:25] op_sel:[0,0,1] op_sel_hi:[0,1,0] neg_lo:[0,0,1] neg_hi:[0,0,1]
	ds_read2_b64 v[22:25], v115 offset0:98 offset1:223
	v_mov_b32_e32 v167, v61
	v_pk_add_f32 v[60:61], v[166:167], v[76:77] neg_lo:[0,1] neg_hi:[0,1]
	v_pk_add_f32 v[32:33], v[164:165], v[20:21] neg_lo:[0,1] neg_hi:[0,1]
	v_pk_mul_f32 v[72:73], v[60:61], s[6:7] op_sel_hi:[1,0]
	s_waitcnt lgkmcnt(0)
	v_pk_mul_f32 v[30:31], v[4:5], v[24:25] op_sel_hi:[0,1]
	v_accvgpr_read_b32 v4, a74
	v_pk_fma_f32 v[168:169], v[62:63], v[24:25], v[30:31] op_sel:[0,0,1] op_sel_hi:[1,1,0]
	v_pk_fma_f32 v[170:171], v[62:63], v[24:25], v[30:31] op_sel:[0,0,1] op_sel_hi:[0,1,0] neg_lo:[0,0,1] neg_hi:[0,0,1]
	v_pk_mul_f32 v[24:25], v[4:5], v[22:23] op_sel_hi:[0,1]
	v_pk_fma_f32 v[172:173], v[86:87], v[22:23], v[24:25] op_sel:[0,0,1] op_sel_hi:[1,1,0]
	v_pk_fma_f32 v[30:31], v[86:87], v[22:23], v[24:25] op_sel:[0,0,1] op_sel_hi:[0,1,0] neg_lo:[0,0,1] neg_hi:[0,0,1]
	ds_read2_b64 v[22:25], v79 offset0:116 offset1:241
	v_mov_b32_e32 v173, v31
	v_pk_add_f32 v[28:29], v[172:173], v[98:99]
	v_pk_add_f32 v[180:181], v[172:173], v[98:99] neg_lo:[0,1] neg_hi:[0,1]
	v_mov_b32_e32 v169, v171
	s_waitcnt lgkmcnt(0)
	v_pk_mul_f32 v[174:175], v[84:85], v[24:25] op_sel:[1,0]
	v_pk_mul_f32 v[60:61], v[60:61], s[8:9] op_sel_hi:[1,0]
	v_pk_fma_f32 v[176:177], v[84:85], v[24:25], v[174:175] op_sel:[0,0,1] op_sel_hi:[1,1,0]
	v_pk_fma_f32 v[24:25], v[84:85], v[24:25], v[174:175] op_sel:[0,0,1] op_sel_hi:[0,1,0] neg_lo:[0,0,1] neg_hi:[0,0,1]
	v_mov_b32_e32 v177, v25
	v_pk_add_f32 v[24:25], v[176:177], v[172:173] neg_lo:[0,1] neg_hi:[0,1]
	v_pk_add_f32 v[174:175], v[176:177], v[152:153] neg_lo:[0,1] neg_hi:[0,1]
	v_pk_add_f32 v[84:85], v[24:25], v[26:27]
	ds_read2_b64 v[24:27], v208 offset1:125
	v_pk_mul_f32 v[30:31], v[174:175], s[6:7] op_sel_hi:[1,0]
	v_pk_add_f32 v[14:15], v[156:157], v[8:9]
	v_pk_add_f32 v[4:5], v[18:19], v[16:17] neg_lo:[0,1] neg_hi:[0,1]
	s_waitcnt lgkmcnt(0)
	v_pk_fma_f32 v[28:29], v[28:29], 0.5, v[24:25] op_sel_hi:[1,0,1] neg_lo:[1,0,0] neg_hi:[1,0,0]
	s_nop 0
	v_pk_add_f32 v[178:179], v[28:29], v[30:31] op_sel:[0,1] op_sel_hi:[1,0] neg_lo:[0,1] neg_hi:[0,1]
	v_pk_add_f32 v[28:29], v[28:29], v[30:31] op_sel:[0,1] op_sel_hi:[1,0]
	v_pk_mul_f32 v[30:31], v[180:181], s[8:9] op_sel_hi:[1,0]
	v_pk_add_f32 v[4:5], v[4:5], v[6:7]
	v_pk_add_f32 v[182:183], v[28:29], v[30:31] op_sel:[0,1] op_sel_hi:[1,0]
	v_pk_add_f32 v[28:29], v[24:25], v[176:177]
	v_pk_add_f32 v[178:179], v[178:179], v[30:31] op_sel:[0,1] op_sel_hi:[1,0] neg_lo:[0,1] neg_hi:[0,1]
	v_pk_add_f32 v[28:29], v[28:29], v[172:173]
	v_pk_add_f32 v[172:173], v[172:173], v[176:177] neg_lo:[0,1] neg_hi:[0,1]
	v_pk_add_f32 v[28:29], v[28:29], v[98:99]
	v_pk_add_f32 v[176:177], v[176:177], v[152:153]
	;; [unrolled: 1-line block ×3, first 2 shown]
	v_pk_add_f32 v[98:99], v[98:99], v[152:153] neg_lo:[0,1] neg_hi:[0,1]
	v_pk_fma_f32 v[24:25], v[176:177], 0.5, v[24:25] op_sel_hi:[1,0,1] neg_lo:[1,0,0] neg_hi:[1,0,0]
	v_pk_mul_f32 v[152:153], v[180:181], s[6:7] op_sel_hi:[1,0]
	v_pk_add_f32 v[98:99], v[172:173], v[98:99]
	v_pk_add_f32 v[172:173], v[24:25], v[152:153] op_sel:[0,1] op_sel_hi:[1,0]
	v_pk_add_f32 v[24:25], v[24:25], v[152:153] op_sel:[0,1] op_sel_hi:[1,0] neg_lo:[0,1] neg_hi:[0,1]
	v_pk_mul_f32 v[152:153], v[174:175], s[8:9] op_sel_hi:[1,0]
	v_mov_b32_e32 v186, v178
	v_pk_add_f32 v[24:25], v[24:25], v[152:153] op_sel:[0,1] op_sel_hi:[1,0]
	v_pk_add_f32 v[152:153], v[172:173], v[152:153] op_sel:[0,1] op_sel_hi:[1,0] neg_lo:[0,1] neg_hi:[0,1]
	v_mov_b32_e32 v173, v25
	v_mov_b32_e32 v172, v152
	;; [unrolled: 1-line block ×4, first 2 shown]
	v_pk_fma_f32 v[152:153], v[98:99], s[2:3], v[172:173] op_sel_hi:[1,0,1]
	v_pk_fma_f32 v[24:25], v[98:99], s[2:3], v[24:25] op_sel_hi:[1,0,1]
	v_mov_b32_e32 v183, v179
	ds_read2_b64 v[28:31], v206 offset0:122 offset1:247
	s_waitcnt lgkmcnt(0)
	s_barrier
	v_pk_fma_f32 v[186:187], v[84:85], s[2:3], v[186:187] op_sel_hi:[1,0,1]
	ds_write2_b64 v43, v[152:153], v[24:25] offset0:50 offset1:75
	v_pk_fma_f32 v[24:25], v[84:85], s[2:3], v[182:183] op_sel_hi:[1,0,1]
	ds_write2_b64 v43, v[184:185], v[186:187] offset1:25
	ds_write_b64 v43, v[24:25] offset:800
	v_pk_add_f32 v[24:25], v[166:167], v[168:169] neg_lo:[0,1] neg_hi:[0,1]
	v_pk_add_f32 v[42:43], v[76:77], v[64:65] neg_lo:[0,1] neg_hi:[0,1]
	v_pk_add_f32 v[48:49], v[28:29], v[164:165]
	v_pk_add_f32 v[24:25], v[24:25], v[42:43]
	;; [unrolled: 1-line block ×4, first 2 shown]
	v_pk_fma_f32 v[42:43], v[42:43], 0.5, v[26:27] op_sel_hi:[1,0,1] neg_lo:[1,0,0] neg_hi:[1,0,0]
	v_pk_add_f32 v[48:49], v[48:49], v[36:37]
	v_pk_add_f32 v[80:81], v[42:43], v[72:73] op_sel:[0,1] op_sel_hi:[1,0] neg_lo:[0,1] neg_hi:[0,1]
	v_pk_add_f32 v[42:43], v[42:43], v[72:73] op_sel:[0,1] op_sel_hi:[1,0]
	v_pk_add_f32 v[72:73], v[168:169], v[64:65] neg_lo:[0,1] neg_hi:[0,1]
	v_pk_add_f32 v[48:49], v[48:49], v[20:21]
	v_pk_mul_f32 v[84:85], v[72:73], s[8:9] op_sel_hi:[1,0]
	v_pk_mul_f32 v[72:73], v[72:73], s[6:7] op_sel_hi:[1,0]
	v_pk_add_f32 v[42:43], v[42:43], v[84:85] op_sel:[0,1] op_sel_hi:[1,0]
	v_pk_add_f32 v[80:81], v[80:81], v[84:85] op_sel:[0,1] op_sel_hi:[1,0] neg_lo:[0,1] neg_hi:[0,1]
	v_pk_add_f32 v[84:85], v[26:27], v[166:167]
	v_mov_b32_e32 v98, v80
	v_pk_add_f32 v[84:85], v[84:85], v[168:169]
	v_mov_b32_e32 v99, v43
	v_pk_add_f32 v[84:85], v[84:85], v[64:65]
	v_pk_fma_f32 v[98:99], v[24:25], s[2:3], v[98:99] op_sel_hi:[1,0,1]
	v_pk_add_f32 v[84:85], v[84:85], v[76:77]
	ds_write2_b64 v63, v[84:85], v[98:99] offset1:25
	v_pk_add_f32 v[84:85], v[166:167], v[76:77]
	v_pk_add_f32 v[64:65], v[64:65], v[76:77] neg_lo:[0,1] neg_hi:[0,1]
	v_pk_fma_f32 v[26:27], v[84:85], 0.5, v[26:27] op_sel_hi:[1,0,1] neg_lo:[1,0,0] neg_hi:[1,0,0]
	v_pk_add_f32 v[84:85], v[168:169], v[166:167] neg_lo:[0,1] neg_hi:[0,1]
	v_pk_add_f32 v[76:77], v[26:27], v[72:73] op_sel:[0,1] op_sel_hi:[1,0]
	v_pk_add_f32 v[26:27], v[26:27], v[72:73] op_sel:[0,1] op_sel_hi:[1,0] neg_lo:[0,1] neg_hi:[0,1]
	v_pk_add_f32 v[64:65], v[84:85], v[64:65]
	v_pk_add_f32 v[26:27], v[26:27], v[60:61] op_sel:[0,1] op_sel_hi:[1,0]
	v_pk_add_f32 v[60:61], v[76:77], v[60:61] op_sel:[0,1] op_sel_hi:[1,0] neg_lo:[0,1] neg_hi:[0,1]
	v_mov_b32_e32 v73, v27
	v_mov_b32_e32 v72, v60
	;; [unrolled: 1-line block ×4, first 2 shown]
	v_pk_fma_f32 v[60:61], v[64:65], s[2:3], v[72:73] op_sel_hi:[1,0,1]
	v_pk_fma_f32 v[26:27], v[64:65], s[2:3], v[26:27] op_sel_hi:[1,0,1]
	;; [unrolled: 1-line block ×3, first 2 shown]
	ds_write2_b64 v63, v[60:61], v[26:27] offset0:50 offset1:75
	ds_write_b64 v63, v[24:25] offset:800
	v_pk_add_f32 v[24:25], v[164:165], v[160:161] neg_lo:[0,1] neg_hi:[0,1]
	v_pk_add_f32 v[26:27], v[20:21], v[36:37] neg_lo:[0,1] neg_hi:[0,1]
	;; [unrolled: 1-line block ×3, first 2 shown]
	v_pk_add_f32 v[24:25], v[24:25], v[26:27]
	v_pk_add_f32 v[26:27], v[160:161], v[36:37]
	v_pk_fma_f32 v[14:15], v[14:15], 0.5, v[30:31] op_sel_hi:[1,0,1] neg_lo:[1,0,0] neg_hi:[1,0,0]
	v_pk_fma_f32 v[26:27], v[26:27], 0.5, v[28:29] op_sel_hi:[1,0,1] neg_lo:[1,0,0] neg_hi:[1,0,0]
	v_pk_add_f32 v[6:7], v[16:17], v[2:3]
	v_pk_fma_f32 v[38:39], v[32:33], s[6:7], v[26:27] op_sel:[1,0,0] op_sel_hi:[0,0,1]
	v_pk_fma_f32 v[26:27], v[32:33], s[6:7], v[26:27] op_sel:[1,0,0] op_sel_hi:[0,0,1] neg_lo:[1,0,0] neg_hi:[1,0,0]
	v_pk_fma_f32 v[26:27], v[42:43], s[8:9], v[26:27] op_sel:[1,0,0] op_sel_hi:[0,0,1] neg_lo:[1,0,0] neg_hi:[1,0,0]
	v_pk_fma_f32 v[38:39], v[42:43], s[8:9], v[38:39] op_sel:[1,0,0] op_sel_hi:[0,0,1]
	v_mov_b32_e32 v61, v27
	v_mov_b32_e32 v27, v39
	v_pk_fma_f32 v[26:27], v[24:25], s[2:3], v[26:27] op_sel_hi:[1,0,1]
	ds_write2_b64 v47, v[48:49], v[26:27] offset1:25
	v_pk_add_f32 v[26:27], v[160:161], v[164:165] neg_lo:[0,1] neg_hi:[0,1]
	v_pk_add_f32 v[48:49], v[164:165], v[20:21]
	v_pk_add_f32 v[20:21], v[36:37], v[20:21] neg_lo:[0,1] neg_hi:[0,1]
	v_mov_b32_e32 v60, v38
	v_pk_add_f32 v[20:21], v[26:27], v[20:21]
	v_pk_fma_f32 v[26:27], v[48:49], 0.5, v[28:29] op_sel_hi:[1,0,1] neg_lo:[1,0,0] neg_hi:[1,0,0]
	v_pk_fma_f32 v[6:7], v[6:7], 0.5, v[22:23] op_sel_hi:[1,0,1] neg_lo:[1,0,0] neg_hi:[1,0,0]
	v_pk_fma_f32 v[28:29], v[42:43], s[6:7], v[26:27] op_sel:[1,0,0] op_sel_hi:[0,0,1] neg_lo:[1,0,0] neg_hi:[1,0,0]
	v_pk_fma_f32 v[26:27], v[42:43], s[6:7], v[26:27] op_sel:[1,0,0] op_sel_hi:[0,0,1]
	v_pk_fma_f32 v[26:27], v[32:33], s[8:9], v[26:27] op_sel:[1,0,0] op_sel_hi:[0,0,1] neg_lo:[1,0,0] neg_hi:[1,0,0]
	v_pk_fma_f32 v[28:29], v[32:33], s[8:9], v[28:29] op_sel:[1,0,0] op_sel_hi:[0,0,1]
	v_mov_b32_e32 v32, v28
	v_mov_b32_e32 v33, v27
	;; [unrolled: 1-line block ×3, first 2 shown]
	v_pk_fma_f32 v[28:29], v[20:21], s[2:3], v[32:33] op_sel_hi:[1,0,1]
	v_pk_fma_f32 v[20:21], v[20:21], s[2:3], v[26:27] op_sel_hi:[1,0,1]
	ds_write2_b64 v47, v[20:21], v[28:29] offset0:50 offset1:75
	v_pk_fma_f32 v[20:21], v[24:25], s[2:3], v[60:61] op_sel_hi:[1,0,1]
	ds_write_b64 v47, v[20:21] offset:800
	v_pk_add_f32 v[20:21], v[154:155], v[10:11] neg_lo:[0,1] neg_hi:[0,1]
	v_pk_add_f32 v[26:27], v[156:157], v[8:9] neg_lo:[0,1] neg_hi:[0,1]
	v_pk_fma_f32 v[24:25], v[20:21], s[6:7], v[14:15] op_sel:[1,0,0] op_sel_hi:[0,0,1]
	v_pk_fma_f32 v[14:15], v[20:21], s[6:7], v[14:15] op_sel:[1,0,0] op_sel_hi:[0,0,1] neg_lo:[1,0,0] neg_hi:[1,0,0]
	v_pk_add_f32 v[28:29], v[30:31], v[154:155]
	v_pk_fma_f32 v[14:15], v[26:27], s[8:9], v[14:15] op_sel:[1,0,0] op_sel_hi:[0,0,1] neg_lo:[1,0,0] neg_hi:[1,0,0]
	v_pk_fma_f32 v[24:25], v[26:27], s[8:9], v[24:25] op_sel:[1,0,0] op_sel_hi:[0,0,1]
	v_pk_add_f32 v[28:29], v[28:29], v[156:157]
	v_mov_b32_e32 v33, v15
	v_pk_add_f32 v[28:29], v[28:29], v[8:9]
	v_mov_b32_e32 v15, v25
	v_pk_add_f32 v[28:29], v[28:29], v[10:11]
	v_pk_fma_f32 v[14:15], v[12:13], s[2:3], v[14:15] op_sel_hi:[1,0,1]
	ds_write2_b64 v51, v[28:29], v[14:15] offset1:25
	v_pk_add_f32 v[14:15], v[154:155], v[10:11]
	v_pk_add_f32 v[8:9], v[8:9], v[10:11] neg_lo:[0,1] neg_hi:[0,1]
	v_pk_fma_f32 v[14:15], v[14:15], 0.5, v[30:31] op_sel_hi:[1,0,1] neg_lo:[1,0,0] neg_hi:[1,0,0]
	v_pk_add_f32 v[28:29], v[156:157], v[154:155] neg_lo:[0,1] neg_hi:[0,1]
	v_pk_fma_f32 v[10:11], v[26:27], s[6:7], v[14:15] op_sel:[1,0,0] op_sel_hi:[0,0,1] neg_lo:[1,0,0] neg_hi:[1,0,0]
	v_pk_fma_f32 v[14:15], v[26:27], s[6:7], v[14:15] op_sel:[1,0,0] op_sel_hi:[0,0,1]
	v_pk_fma_f32 v[14:15], v[20:21], s[8:9], v[14:15] op_sel:[1,0,0] op_sel_hi:[0,0,1] neg_lo:[1,0,0] neg_hi:[1,0,0]
	v_pk_fma_f32 v[10:11], v[20:21], s[8:9], v[10:11] op_sel:[1,0,0] op_sel_hi:[0,0,1]
	v_pk_add_f32 v[8:9], v[28:29], v[8:9]
	v_mov_b32_e32 v20, v10
	v_mov_b32_e32 v21, v15
	;; [unrolled: 1-line block ×3, first 2 shown]
	v_pk_fma_f32 v[10:11], v[8:9], s[2:3], v[20:21] op_sel_hi:[1,0,1]
	v_pk_fma_f32 v[8:9], v[8:9], s[2:3], v[14:15] op_sel_hi:[1,0,1]
	v_mov_b32_e32 v32, v24
	ds_write2_b64 v51, v[8:9], v[10:11] offset0:50 offset1:75
	v_pk_fma_f32 v[8:9], v[12:13], s[2:3], v[32:33] op_sel_hi:[1,0,1]
	ds_write_b64 v51, v[8:9] offset:800
	v_pk_add_f32 v[8:9], v[18:19], v[0:1] neg_lo:[0,1] neg_hi:[0,1]
	v_pk_add_f32 v[12:13], v[16:17], v[2:3] neg_lo:[0,1] neg_hi:[0,1]
	v_pk_fma_f32 v[10:11], v[8:9], s[6:7], v[6:7] op_sel:[1,0,0] op_sel_hi:[0,0,1]
	v_pk_fma_f32 v[6:7], v[8:9], s[6:7], v[6:7] op_sel:[1,0,0] op_sel_hi:[0,0,1] neg_lo:[1,0,0] neg_hi:[1,0,0]
	v_pk_add_f32 v[14:15], v[22:23], v[18:19]
	v_pk_fma_f32 v[6:7], v[12:13], s[8:9], v[6:7] op_sel:[1,0,0] op_sel_hi:[0,0,1] neg_lo:[1,0,0] neg_hi:[1,0,0]
	v_pk_fma_f32 v[10:11], v[12:13], s[8:9], v[10:11] op_sel:[1,0,0] op_sel_hi:[0,0,1]
	v_pk_add_f32 v[14:15], v[14:15], v[16:17]
	v_mov_b32_e32 v21, v7
	v_pk_add_f32 v[14:15], v[14:15], v[2:3]
	v_mov_b32_e32 v7, v11
	v_pk_add_f32 v[14:15], v[14:15], v[0:1]
	v_pk_fma_f32 v[6:7], v[4:5], s[2:3], v[6:7] op_sel_hi:[1,0,1]
	ds_write2_b64 v67, v[14:15], v[6:7] offset1:25
	v_pk_add_f32 v[6:7], v[18:19], v[0:1]
	v_pk_add_f32 v[0:1], v[2:3], v[0:1] neg_lo:[0,1] neg_hi:[0,1]
	v_pk_fma_f32 v[6:7], v[6:7], 0.5, v[22:23] op_sel_hi:[1,0,1] neg_lo:[1,0,0] neg_hi:[1,0,0]
	v_pk_add_f32 v[14:15], v[16:17], v[18:19] neg_lo:[0,1] neg_hi:[0,1]
	v_pk_fma_f32 v[2:3], v[12:13], s[6:7], v[6:7] op_sel:[1,0,0] op_sel_hi:[0,0,1] neg_lo:[1,0,0] neg_hi:[1,0,0]
	v_pk_fma_f32 v[6:7], v[12:13], s[6:7], v[6:7] op_sel:[1,0,0] op_sel_hi:[0,0,1]
	v_pk_fma_f32 v[6:7], v[8:9], s[8:9], v[6:7] op_sel:[1,0,0] op_sel_hi:[0,0,1] neg_lo:[1,0,0] neg_hi:[1,0,0]
	v_pk_fma_f32 v[2:3], v[8:9], s[8:9], v[2:3] op_sel:[1,0,0] op_sel_hi:[0,0,1]
	v_pk_add_f32 v[0:1], v[14:15], v[0:1]
	v_mov_b32_e32 v8, v2
	v_mov_b32_e32 v9, v7
	;; [unrolled: 1-line block ×3, first 2 shown]
	v_pk_fma_f32 v[2:3], v[0:1], s[2:3], v[8:9] op_sel_hi:[1,0,1]
	v_pk_fma_f32 v[0:1], v[0:1], s[2:3], v[6:7] op_sel_hi:[1,0,1]
	v_mov_b32_e32 v20, v10
	ds_write2_b64 v67, v[0:1], v[2:3] offset0:50 offset1:75
	v_pk_fma_f32 v[0:1], v[4:5], s[2:3], v[20:21] op_sel_hi:[1,0,1]
	ds_write_b64 v67, v[0:1] offset:800
	s_waitcnt lgkmcnt(0)
	s_barrier
	ds_read_b64 v[6:7], v208 offset:24000
	ds_read2_b64 v[0:3], v209 offset0:74 offset1:199
	ds_read2_b64 v[20:23], v103 offset0:62 offset1:187
	v_accvgpr_read_b32 v4, a116
	ds_read2_b64 v[30:33], v107 offset0:68 offset1:193
	s_waitcnt lgkmcnt(3)
	v_pk_mul_f32 v[8:9], v[4:5], v[6:7] op_sel_hi:[0,1]
	s_waitcnt lgkmcnt(2)
	v_pk_mul_f32 v[10:11], v[112:113], v[2:3] op_sel:[1,0]
	v_pk_fma_f32 v[4:5], v[114:115], v[6:7], v[8:9] op_sel:[0,0,1] op_sel_hi:[1,1,0]
	v_pk_fma_f32 v[8:9], v[114:115], v[6:7], v[8:9] op_sel:[0,0,1] op_sel_hi:[0,1,0] neg_lo:[0,0,1] neg_hi:[0,0,1]
	v_pk_fma_f32 v[6:7], v[112:113], v[2:3], v[10:11] op_sel:[0,0,1] op_sel_hi:[1,1,0]
	v_pk_fma_f32 v[10:11], v[112:113], v[2:3], v[10:11] op_sel:[0,0,1] op_sel_hi:[0,1,0] neg_lo:[0,0,1] neg_hi:[0,0,1]
	v_pk_mul_f32 v[2:3], v[104:105], v[0:1] op_sel:[1,0]
	v_mov_b32_e32 v8, v119
	v_pk_fma_f32 v[12:13], v[104:105], v[0:1], v[2:3] op_sel:[0,0,1] op_sel_hi:[1,1,0]
	v_pk_fma_f32 v[16:17], v[104:105], v[0:1], v[2:3] op_sel:[0,0,1] op_sel_hi:[0,1,0] neg_lo:[0,0,1] neg_hi:[0,0,1]
	v_accvgpr_read_b32 v0, a104
	s_waitcnt lgkmcnt(1)
	v_pk_mul_f32 v[18:19], v[0:1], v[22:23] op_sel_hi:[0,1]
	ds_read2_b64 v[0:3], v151 offset0:80 offset1:205
	v_pk_mul_f32 v[24:25], v[8:9], v[20:21] op_sel_hi:[0,1]
	v_pk_fma_f32 v[14:15], v[106:107], v[22:23], v[18:19] op_sel:[0,0,1] op_sel_hi:[1,1,0]
	v_pk_fma_f32 v[18:19], v[106:107], v[22:23], v[18:19] op_sel:[0,0,1] op_sel_hi:[0,1,0] neg_lo:[0,0,1] neg_hi:[0,0,1]
	v_pk_fma_f32 v[22:23], v[118:119], v[20:21], v[24:25] op_sel:[0,0,1] op_sel_hi:[1,1,0]
	v_pk_fma_f32 v[28:29], v[118:119], v[20:21], v[24:25] op_sel:[0,0,1] op_sel_hi:[0,1,0] neg_lo:[0,0,1] neg_hi:[0,0,1]
	s_waitcnt lgkmcnt(0)
	v_pk_mul_f32 v[20:21], v[116:117], v[2:3] op_sel:[1,0]
	ds_read2_b64 v[36:39], v205 offset0:104 offset1:229
	v_pk_fma_f32 v[26:27], v[116:117], v[2:3], v[20:21] op_sel:[0,0,1] op_sel_hi:[1,1,0]
	v_pk_fma_f32 v[44:45], v[116:117], v[2:3], v[20:21] op_sel:[0,0,1] op_sel_hi:[0,1,0] neg_lo:[0,0,1] neg_hi:[0,0,1]
	v_pk_mul_f32 v[2:3], v[56:57], v[0:1] op_sel:[1,0]
	v_pk_mul_f32 v[20:21], v[34:35], v[30:31] op_sel_hi:[0,1]
	v_pk_fma_f32 v[46:47], v[56:57], v[0:1], v[2:3] op_sel:[0,0,1] op_sel_hi:[1,1,0]
	v_pk_fma_f32 v[48:49], v[56:57], v[0:1], v[2:3] op_sel:[0,0,1] op_sel_hi:[0,1,0] neg_lo:[0,0,1] neg_hi:[0,0,1]
	ds_read2_b64 v[0:3], v147 offset0:86 offset1:211
	v_pk_fma_f32 v[50:51], v[58:59], v[30:31], v[20:21] op_sel:[0,0,1] op_sel_hi:[1,1,0]
	v_pk_fma_f32 v[60:61], v[58:59], v[30:31], v[20:21] op_sel:[0,0,1] op_sel_hi:[0,1,0] neg_lo:[0,0,1] neg_hi:[0,0,1]
	v_pk_mul_f32 v[20:21], v[34:35], v[32:33] op_sel_hi:[0,1]
	v_pk_fma_f32 v[62:63], v[58:59], v[32:33], v[20:21] op_sel:[0,0,1] op_sel_hi:[1,1,0]
	v_pk_fma_f32 v[64:65], v[58:59], v[32:33], v[20:21] op_sel:[0,0,1] op_sel_hi:[0,1,0] neg_lo:[0,0,1] neg_hi:[0,0,1]
	s_waitcnt lgkmcnt(0)
	v_pk_mul_f32 v[20:21], v[56:57], v[2:3] op_sel:[1,0]
	v_pk_mul_f32 v[32:33], v[68:69], v[38:39] op_sel:[1,0]
	v_pk_fma_f32 v[66:67], v[56:57], v[2:3], v[20:21] op_sel:[0,0,1] op_sel_hi:[1,1,0]
	v_pk_fma_f32 v[56:57], v[56:57], v[2:3], v[20:21] op_sel:[0,0,1] op_sel_hi:[0,1,0] neg_lo:[0,0,1] neg_hi:[0,0,1]
	v_accvgpr_read_b32 v2, a76
	v_pk_mul_f32 v[2:3], v[2:3], v[0:1] op_sel_hi:[0,1]
	v_pk_fma_f32 v[20:21], v[70:71], v[0:1], v[2:3] op_sel:[0,0,1] op_sel_hi:[1,1,0]
	v_pk_fma_f32 v[30:31], v[70:71], v[0:1], v[2:3] op_sel:[0,0,1] op_sel_hi:[0,1,0] neg_lo:[0,0,1] neg_hi:[0,0,1]
	ds_read2_b64 v[0:3], v111 offset0:92 offset1:217
	v_pk_fma_f32 v[24:25], v[68:69], v[38:39], v[32:33] op_sel:[0,0,1] op_sel_hi:[1,1,0]
	v_pk_fma_f32 v[32:33], v[68:69], v[38:39], v[32:33] op_sel:[0,0,1] op_sel_hi:[0,1,0] neg_lo:[0,0,1] neg_hi:[0,0,1]
	v_pk_mul_f32 v[38:39], v[88:89], v[36:37] op_sel:[1,0]
	v_accvgpr_read_b32 v8, a82
	v_pk_fma_f32 v[34:35], v[88:89], v[36:37], v[38:39] op_sel:[0,0,1] op_sel_hi:[1,1,0]
	v_pk_fma_f32 v[68:69], v[88:89], v[36:37], v[38:39] op_sel:[0,0,1] op_sel_hi:[0,1,0] neg_lo:[0,0,1] neg_hi:[0,0,1]
	ds_read2_b64 v[36:39], v207 offset0:110 offset1:235
	s_waitcnt lgkmcnt(1)
	v_pk_mul_f32 v[40:41], v[8:9], v[2:3] op_sel_hi:[0,1]
	v_pk_fma_f32 v[72:73], v[90:91], v[2:3], v[40:41] op_sel:[0,0,1] op_sel_hi:[1,1,0]
	v_pk_fma_f32 v[76:77], v[90:91], v[2:3], v[40:41] op_sel:[0,0,1] op_sel_hi:[0,1,0] neg_lo:[0,0,1] neg_hi:[0,0,1]
	v_accvgpr_read_b32 v2, a88
	v_pk_mul_f32 v[2:3], v[2:3], v[0:1] op_sel_hi:[0,1]
	v_pk_fma_f32 v[80:81], v[94:95], v[0:1], v[2:3] op_sel:[0,0,1] op_sel_hi:[1,1,0]
	v_pk_fma_f32 v[84:85], v[94:95], v[0:1], v[2:3] op_sel:[0,0,1] op_sel_hi:[0,1,0] neg_lo:[0,0,1] neg_hi:[0,0,1]
	s_waitcnt lgkmcnt(0)
	v_pk_mul_f32 v[0:1], v[92:93], v[38:39] op_sel:[1,0]
	ds_read2_b64 v[40:43], v115 offset0:98 offset1:223
	v_pk_fma_f32 v[88:89], v[92:93], v[38:39], v[0:1] op_sel:[0,0,1] op_sel_hi:[1,1,0]
	v_pk_fma_f32 v[92:93], v[92:93], v[38:39], v[0:1] op_sel:[0,0,1] op_sel_hi:[0,1,0] neg_lo:[0,0,1] neg_hi:[0,0,1]
	v_pk_mul_f32 v[0:1], v[52:53], v[36:37] op_sel:[1,0]
	v_mov_b32_e32 v67, v57
	v_pk_fma_f32 v[96:97], v[52:53], v[36:37], v[0:1] op_sel:[0,0,1] op_sel_hi:[1,1,0]
	v_pk_fma_f32 v[98:99], v[52:53], v[36:37], v[0:1] op_sel:[0,0,1] op_sel_hi:[0,1,0] neg_lo:[0,0,1] neg_hi:[0,0,1]
	ds_read2_b64 v[0:3], v79 offset0:116 offset1:241
	s_waitcnt lgkmcnt(1)
	v_pk_mul_f32 v[36:37], v[250:251], v[40:41] op_sel_hi:[0,1]
	v_pk_mul_f32 v[38:39], v[250:251], v[42:43] op_sel_hi:[0,1]
	v_pk_fma_f32 v[104:105], v[54:55], v[40:41], v[36:37] op_sel:[0,0,1] op_sel_hi:[1,1,0]
	v_pk_fma_f32 v[36:37], v[54:55], v[40:41], v[36:37] op_sel:[0,0,1] op_sel_hi:[0,1,0] neg_lo:[0,0,1] neg_hi:[0,0,1]
	v_pk_fma_f32 v[106:107], v[54:55], v[42:43], v[38:39] op_sel:[0,0,1] op_sel_hi:[1,1,0]
	v_pk_fma_f32 v[112:113], v[54:55], v[42:43], v[38:39] op_sel:[0,0,1] op_sel_hi:[0,1,0] neg_lo:[0,0,1] neg_hi:[0,0,1]
	s_waitcnt lgkmcnt(0)
	v_pk_mul_f32 v[38:39], v[52:53], v[2:3] op_sel:[1,0]
	v_mov_b32_e32 v105, v37
	v_pk_fma_f32 v[114:115], v[52:53], v[2:3], v[38:39] op_sel:[0,0,1] op_sel_hi:[1,1,0]
	v_pk_fma_f32 v[2:3], v[52:53], v[2:3], v[38:39] op_sel:[0,0,1] op_sel_hi:[0,1,0] neg_lo:[0,0,1] neg_hi:[0,0,1]
	ds_read2_b64 v[36:39], v208 offset1:125
	v_mov_b32_e32 v115, v3
	v_mov_b32_e32 v51, v61
	v_pk_add_f32 v[2:3], v[114:115], v[104:105] neg_lo:[0,1] neg_hi:[0,1]
	v_pk_add_f32 v[40:41], v[50:51], v[66:67] neg_lo:[0,1] neg_hi:[0,1]
	;; [unrolled: 1-line block ×3, first 2 shown]
	v_pk_add_f32 v[2:3], v[2:3], v[40:41]
	v_pk_add_f32 v[40:41], v[104:105], v[66:67]
	v_pk_mul_f32 v[42:43], v[52:53], s[6:7] op_sel_hi:[1,0]
	s_waitcnt lgkmcnt(0)
	v_pk_fma_f32 v[40:41], v[40:41], 0.5, v[36:37] op_sel_hi:[1,0,1] neg_lo:[1,0,0] neg_hi:[1,0,0]
	v_pk_add_f32 v[60:61], v[104:105], v[66:67] neg_lo:[0,1] neg_hi:[0,1]
	v_pk_add_f32 v[56:57], v[40:41], v[42:43] op_sel:[0,1] op_sel_hi:[1,0] neg_lo:[0,1] neg_hi:[0,1]
	v_pk_add_f32 v[40:41], v[40:41], v[42:43] op_sel:[0,1] op_sel_hi:[1,0]
	v_pk_mul_f32 v[42:43], v[60:61], s[8:9] op_sel_hi:[1,0]
	v_pk_mul_f32 v[60:61], v[60:61], s[6:7] op_sel_hi:[1,0]
	v_pk_add_f32 v[116:117], v[40:41], v[42:43] op_sel:[0,1] op_sel_hi:[1,0]
	v_pk_add_f32 v[40:41], v[36:37], v[114:115]
	v_pk_mul_f32 v[52:53], v[52:53], s[8:9] op_sel_hi:[1,0]
	v_pk_add_f32 v[40:41], v[40:41], v[104:105]
	v_pk_add_f32 v[104:105], v[104:105], v[114:115] neg_lo:[0,1] neg_hi:[0,1]
	v_pk_add_f32 v[114:115], v[114:115], v[50:51]
	v_pk_add_f32 v[40:41], v[40:41], v[66:67]
	v_pk_fma_f32 v[36:37], v[114:115], 0.5, v[36:37] op_sel_hi:[1,0,1] neg_lo:[1,0,0] neg_hi:[1,0,0]
	v_pk_add_f32 v[118:119], v[40:41], v[50:51]
	v_pk_add_f32 v[50:51], v[66:67], v[50:51] neg_lo:[0,1] neg_hi:[0,1]
	v_pk_add_f32 v[66:67], v[36:37], v[60:61] op_sel:[0,1] op_sel_hi:[1,0]
	v_pk_add_f32 v[36:37], v[36:37], v[60:61] op_sel:[0,1] op_sel_hi:[1,0] neg_lo:[0,1] neg_hi:[0,1]
	v_pk_add_f32 v[56:57], v[56:57], v[42:43] op_sel:[0,1] op_sel_hi:[1,0] neg_lo:[0,1] neg_hi:[0,1]
	v_pk_add_f32 v[36:37], v[36:37], v[52:53] op_sel:[0,1] op_sel_hi:[1,0]
	v_pk_add_f32 v[52:53], v[66:67], v[52:53] op_sel:[0,1] op_sel_hi:[1,0] neg_lo:[0,1] neg_hi:[0,1]
	v_mov_b32_e32 v40, v56
	v_mov_b32_e32 v41, v117
	v_pk_add_f32 v[50:51], v[104:105], v[50:51]
	v_mov_b32_e32 v60, v52
	v_mov_b32_e32 v61, v37
	;; [unrolled: 1-line block ×3, first 2 shown]
	v_pk_fma_f32 v[152:153], v[2:3], s[2:3], v[40:41] op_sel_hi:[1,0,1]
	v_pk_fma_f32 v[52:53], v[50:51], s[2:3], v[60:61] op_sel_hi:[1,0,1]
	;; [unrolled: 1-line block ×3, first 2 shown]
	v_mov_b32_e32 v97, v99
	ds_read2_b64 v[40:43], v206 offset0:122 offset1:247
	s_waitcnt lgkmcnt(0)
	s_barrier
	ds_write2_b64 v208, v[118:119], v[152:153] offset1:125
	ds_write2_b64 v206, v[52:53], v[36:37] offset0:122 offset1:247
	v_mov_b32_e32 v107, v113
	v_pk_add_f32 v[36:37], v[38:39], v[96:97]
	v_mov_b32_e32 v47, v49
	v_pk_add_f32 v[36:37], v[36:37], v[106:107]
	v_mov_b32_e32 v117, v57
	v_mov_b32_e32 v63, v65
	v_pk_add_f32 v[36:37], v[36:37], v[46:47]
	v_pk_fma_f32 v[2:3], v[2:3], s[2:3], v[116:117] op_sel_hi:[1,0,1]
	v_pk_add_f32 v[36:37], v[36:37], v[62:63]
	ds_write2_b64 v79, v[2:3], v[36:37] offset0:116 offset1:241
	v_pk_add_f32 v[2:3], v[106:107], v[46:47]
	v_pk_add_f32 v[36:37], v[96:97], v[62:63]
	v_pk_fma_f32 v[2:3], v[2:3], 0.5, v[38:39] op_sel_hi:[1,0,1] neg_lo:[1,0,0] neg_hi:[1,0,0]
	v_pk_fma_f32 v[36:37], v[36:37], 0.5, v[38:39] op_sel_hi:[1,0,1] neg_lo:[1,0,0] neg_hi:[1,0,0]
	v_pk_add_f32 v[38:39], v[96:97], v[106:107] neg_lo:[0,1] neg_hi:[0,1]
	v_pk_add_f32 v[48:49], v[62:63], v[46:47] neg_lo:[0,1] neg_hi:[0,1]
	;; [unrolled: 1-line block ×3, first 2 shown]
	v_pk_add_f32 v[38:39], v[38:39], v[48:49]
	v_pk_add_f32 v[48:49], v[96:97], v[62:63] neg_lo:[0,1] neg_hi:[0,1]
	v_pk_add_f32 v[52:53], v[106:107], v[46:47] neg_lo:[0,1] neg_hi:[0,1]
	;; [unrolled: 1-line block ×3, first 2 shown]
	v_pk_fma_f32 v[56:57], v[52:53], s[6:7], v[36:37] op_sel:[1,0,0] op_sel_hi:[0,0,1] neg_lo:[1,0,0] neg_hi:[1,0,0]
	v_pk_add_f32 v[46:47], v[50:51], v[46:47]
	v_pk_fma_f32 v[50:51], v[48:49], s[6:7], v[2:3] op_sel:[1,0,0] op_sel_hi:[0,0,1]
	v_pk_fma_f32 v[2:3], v[48:49], s[6:7], v[2:3] op_sel:[1,0,0] op_sel_hi:[0,0,1] neg_lo:[1,0,0] neg_hi:[1,0,0]
	v_pk_fma_f32 v[36:37], v[52:53], s[6:7], v[36:37] op_sel:[1,0,0] op_sel_hi:[0,0,1]
	v_pk_fma_f32 v[2:3], v[52:53], s[8:9], v[2:3] op_sel:[1,0,0] op_sel_hi:[0,0,1] neg_lo:[1,0,0] neg_hi:[1,0,0]
	;; [unrolled: 2-line block ×3, first 2 shown]
	v_pk_fma_f32 v[48:49], v[48:49], s[8:9], v[56:57] op_sel:[1,0,0] op_sel_hi:[0,0,1]
	v_mov_b32_e32 v53, v3
	v_mov_b32_e32 v3, v51
	;; [unrolled: 1-line block ×4, first 2 shown]
	v_pk_fma_f32 v[2:3], v[38:39], s[2:3], v[2:3] op_sel_hi:[1,0,1]
	v_pk_fma_f32 v[36:37], v[46:47], s[2:3], v[36:37] op_sel_hi:[1,0,1]
	v_mov_b32_e32 v52, v50
	v_mov_b32_e32 v50, v48
	ds_write2_b64 v207, v[2:3], v[36:37] offset0:110 offset1:235
	v_pk_fma_f32 v[2:3], v[38:39], s[2:3], v[52:53] op_sel_hi:[1,0,1]
	v_pk_fma_f32 v[36:37], v[46:47], s[2:3], v[50:51] op_sel_hi:[1,0,1]
	v_mov_b32_e32 v89, v93
	v_mov_b32_e32 v81, v85
	;; [unrolled: 1-line block ×4, first 2 shown]
	ds_write2_b64 v205, v[36:37], v[2:3] offset0:104 offset1:229
	v_pk_add_f32 v[2:3], v[88:89], v[80:81] neg_lo:[0,1] neg_hi:[0,1]
	v_pk_add_f32 v[28:29], v[22:23], v[26:27] neg_lo:[0,1] neg_hi:[0,1]
	;; [unrolled: 1-line block ×3, first 2 shown]
	v_pk_add_f32 v[2:3], v[2:3], v[28:29]
	v_pk_add_f32 v[28:29], v[80:81], v[26:27]
	v_pk_add_f32 v[44:45], v[80:81], v[26:27] neg_lo:[0,1] neg_hi:[0,1]
	v_pk_fma_f32 v[28:29], v[28:29], 0.5, v[40:41] op_sel_hi:[1,0,1] neg_lo:[1,0,0] neg_hi:[1,0,0]
	v_pk_add_f32 v[46:47], v[40:41], v[88:89]
	v_pk_fma_f32 v[38:39], v[36:37], s[6:7], v[28:29] op_sel:[1,0,0] op_sel_hi:[0,0,1]
	v_pk_fma_f32 v[28:29], v[36:37], s[6:7], v[28:29] op_sel:[1,0,0] op_sel_hi:[0,0,1] neg_lo:[1,0,0] neg_hi:[1,0,0]
	v_pk_fma_f32 v[28:29], v[44:45], s[8:9], v[28:29] op_sel:[1,0,0] op_sel_hi:[0,0,1] neg_lo:[1,0,0] neg_hi:[1,0,0]
	v_pk_fma_f32 v[38:39], v[44:45], s[8:9], v[38:39] op_sel:[1,0,0] op_sel_hi:[0,0,1]
	v_pk_add_f32 v[46:47], v[46:47], v[80:81]
	v_mov_b32_e32 v49, v29
	v_pk_add_f32 v[46:47], v[46:47], v[26:27]
	v_mov_b32_e32 v29, v39
	v_pk_add_f32 v[46:47], v[46:47], v[22:23]
	v_pk_fma_f32 v[28:29], v[2:3], s[2:3], v[28:29] op_sel_hi:[1,0,1]
	v_accvgpr_read_b32 v5, a53
	ds_write2_b64 v5, v[46:47], v[28:29] offset0:98 offset1:223
	v_pk_add_f32 v[46:47], v[88:89], v[22:23]
	v_pk_add_f32 v[28:29], v[80:81], v[88:89] neg_lo:[0,1] neg_hi:[0,1]
	v_pk_add_f32 v[22:23], v[26:27], v[22:23] neg_lo:[0,1] neg_hi:[0,1]
	v_pk_fma_f32 v[26:27], v[46:47], 0.5, v[40:41] op_sel_hi:[1,0,1] neg_lo:[1,0,0] neg_hi:[1,0,0]
	v_pk_add_f32 v[22:23], v[28:29], v[22:23]
	v_pk_fma_f32 v[28:29], v[44:45], s[6:7], v[26:27] op_sel:[1,0,0] op_sel_hi:[0,0,1] neg_lo:[1,0,0] neg_hi:[1,0,0]
	v_pk_fma_f32 v[26:27], v[44:45], s[6:7], v[26:27] op_sel:[1,0,0] op_sel_hi:[0,0,1]
	v_pk_fma_f32 v[26:27], v[36:37], s[8:9], v[26:27] op_sel:[1,0,0] op_sel_hi:[0,0,1] neg_lo:[1,0,0] neg_hi:[1,0,0]
	v_pk_fma_f32 v[28:29], v[36:37], s[8:9], v[28:29] op_sel:[1,0,0] op_sel_hi:[0,0,1]
	v_mov_b32_e32 v35, v69
	v_mov_b32_e32 v73, v77
	;; [unrolled: 1-line block ×7, first 2 shown]
	v_pk_add_f32 v[16:17], v[34:35], v[72:73] neg_lo:[0,1] neg_hi:[0,1]
	v_pk_add_f32 v[18:19], v[14:15], v[12:13] neg_lo:[0,1] neg_hi:[0,1]
	v_pk_fma_f32 v[28:29], v[22:23], s[2:3], v[36:37] op_sel_hi:[1,0,1]
	v_pk_fma_f32 v[22:23], v[22:23], s[2:3], v[26:27] op_sel_hi:[1,0,1]
	v_pk_add_f32 v[16:17], v[16:17], v[18:19]
	v_pk_add_f32 v[18:19], v[72:73], v[12:13]
	ds_write2_b64 v75, v[22:23], v[28:29] offset0:92 offset1:217
	v_pk_fma_f32 v[18:19], v[18:19], 0.5, v[42:43] op_sel_hi:[1,0,1] neg_lo:[1,0,0] neg_hi:[1,0,0]
	v_pk_add_f32 v[22:23], v[34:35], v[14:15] neg_lo:[0,1] neg_hi:[0,1]
	v_pk_add_f32 v[28:29], v[72:73], v[12:13] neg_lo:[0,1] neg_hi:[0,1]
	v_pk_fma_f32 v[26:27], v[22:23], s[6:7], v[18:19] op_sel:[1,0,0] op_sel_hi:[0,0,1]
	v_pk_fma_f32 v[18:19], v[22:23], s[6:7], v[18:19] op_sel:[1,0,0] op_sel_hi:[0,0,1] neg_lo:[1,0,0] neg_hi:[1,0,0]
	v_pk_add_f32 v[36:37], v[42:43], v[34:35]
	v_pk_fma_f32 v[18:19], v[28:29], s[8:9], v[18:19] op_sel:[1,0,0] op_sel_hi:[0,0,1] neg_lo:[1,0,0] neg_hi:[1,0,0]
	v_pk_fma_f32 v[26:27], v[28:29], s[8:9], v[26:27] op_sel:[1,0,0] op_sel_hi:[0,0,1]
	v_pk_add_f32 v[36:37], v[36:37], v[72:73]
	v_mov_b32_e32 v41, v19
	v_pk_add_f32 v[36:37], v[36:37], v[12:13]
	v_mov_b32_e32 v19, v27
	v_pk_add_f32 v[36:37], v[36:37], v[14:15]
	v_pk_fma_f32 v[18:19], v[16:17], s[2:3], v[18:19] op_sel_hi:[1,0,1]
	ds_write2_b64 v87, v[36:37], v[18:19] offset0:83 offset1:208
	v_pk_add_f32 v[18:19], v[34:35], v[14:15]
	v_pk_add_f32 v[12:13], v[12:13], v[14:15] neg_lo:[0,1] neg_hi:[0,1]
	v_pk_fma_f32 v[18:19], v[18:19], 0.5, v[42:43] op_sel_hi:[1,0,1] neg_lo:[1,0,0] neg_hi:[1,0,0]
	v_pk_add_f32 v[34:35], v[72:73], v[34:35] neg_lo:[0,1] neg_hi:[0,1]
	v_pk_fma_f32 v[14:15], v[28:29], s[6:7], v[18:19] op_sel:[1,0,0] op_sel_hi:[0,0,1] neg_lo:[1,0,0] neg_hi:[1,0,0]
	v_pk_fma_f32 v[18:19], v[28:29], s[6:7], v[18:19] op_sel:[1,0,0] op_sel_hi:[0,0,1]
	v_pk_fma_f32 v[18:19], v[22:23], s[8:9], v[18:19] op_sel:[1,0,0] op_sel_hi:[0,0,1] neg_lo:[1,0,0] neg_hi:[1,0,0]
	v_pk_fma_f32 v[14:15], v[22:23], s[8:9], v[14:15] op_sel:[1,0,0] op_sel_hi:[0,0,1]
	v_pk_add_f32 v[12:13], v[34:35], v[12:13]
	v_mov_b32_e32 v22, v14
	v_mov_b32_e32 v23, v19
	;; [unrolled: 1-line block ×3, first 2 shown]
	v_pk_fma_f32 v[14:15], v[12:13], s[2:3], v[22:23] op_sel_hi:[1,0,1]
	v_pk_fma_f32 v[12:13], v[12:13], s[2:3], v[18:19] op_sel_hi:[1,0,1]
	v_mov_b32_e32 v21, v31
	v_mov_b32_e32 v7, v11
	ds_write2_b64 v91, v[12:13], v[14:15] offset0:77 offset1:202
	v_mov_b32_e32 v25, v33
	v_mov_b32_e32 v5, v9
	v_pk_add_f32 v[12:13], v[20:21], v[6:7]
	v_mov_b32_e32 v48, v38
	v_pk_add_f32 v[8:9], v[24:25], v[20:21] neg_lo:[0,1] neg_hi:[0,1]
	v_pk_add_f32 v[10:11], v[4:5], v[6:7] neg_lo:[0,1] neg_hi:[0,1]
	v_mov_b32_e32 v40, v26
	v_pk_fma_f32 v[12:13], v[12:13], 0.5, v[0:1] op_sel_hi:[1,0,1] neg_lo:[1,0,0] neg_hi:[1,0,0]
	v_pk_add_f32 v[14:15], v[24:25], v[4:5] neg_lo:[0,1] neg_hi:[0,1]
	v_pk_fma_f32 v[2:3], v[2:3], s[2:3], v[48:49] op_sel_hi:[1,0,1]
	v_pk_add_f32 v[8:9], v[8:9], v[10:11]
	v_pk_fma_f32 v[10:11], v[16:17], s[2:3], v[40:41] op_sel_hi:[1,0,1]
	v_pk_add_f32 v[16:17], v[20:21], v[6:7] neg_lo:[0,1] neg_hi:[0,1]
	ds_write_b64 v55, v[2:3] offset:14000
	v_pk_fma_f32 v[2:3], v[14:15], s[6:7], v[12:13] op_sel:[1,0,0] op_sel_hi:[0,0,1]
	v_pk_fma_f32 v[12:13], v[14:15], s[6:7], v[12:13] op_sel:[1,0,0] op_sel_hi:[0,0,1] neg_lo:[1,0,0] neg_hi:[1,0,0]
	v_pk_add_f32 v[18:19], v[0:1], v[24:25]
	v_pk_fma_f32 v[12:13], v[16:17], s[8:9], v[12:13] op_sel:[1,0,0] op_sel_hi:[0,0,1] neg_lo:[1,0,0] neg_hi:[1,0,0]
	v_pk_fma_f32 v[2:3], v[16:17], s[8:9], v[2:3] op_sel:[1,0,0] op_sel_hi:[0,0,1]
	v_pk_add_f32 v[18:19], v[18:19], v[20:21]
	ds_write_b64 v59, v[10:11] offset:19000
	v_mov_b32_e32 v11, v13
	v_pk_add_f32 v[18:19], v[18:19], v[6:7]
	v_mov_b32_e32 v13, v3
	v_mov_b32_e32 v10, v2
	v_pk_add_f32 v[18:19], v[18:19], v[4:5]
	v_pk_fma_f32 v[2:3], v[8:9], s[2:3], v[12:13] op_sel_hi:[1,0,1]
	ds_write2_b64 v83, v[18:19], v[2:3] offset0:68 offset1:193
	v_pk_add_f32 v[2:3], v[24:25], v[4:5]
	v_pk_add_f32 v[4:5], v[6:7], v[4:5] neg_lo:[0,1] neg_hi:[0,1]
	v_pk_fma_f32 v[0:1], v[2:3], 0.5, v[0:1] op_sel_hi:[1,0,1] neg_lo:[1,0,0] neg_hi:[1,0,0]
	v_pk_add_f32 v[2:3], v[20:21], v[24:25] neg_lo:[0,1] neg_hi:[0,1]
	v_pk_fma_f32 v[10:11], v[8:9], s[2:3], v[10:11] op_sel_hi:[1,0,1]
	v_pk_add_f32 v[2:3], v[2:3], v[4:5]
	v_pk_fma_f32 v[4:5], v[16:17], s[6:7], v[0:1] op_sel:[1,0,0] op_sel_hi:[0,0,1] neg_lo:[1,0,0] neg_hi:[1,0,0]
	v_pk_fma_f32 v[0:1], v[16:17], s[6:7], v[0:1] op_sel:[1,0,0] op_sel_hi:[0,0,1]
	v_pk_fma_f32 v[0:1], v[14:15], s[8:9], v[0:1] op_sel:[1,0,0] op_sel_hi:[0,0,1] neg_lo:[1,0,0] neg_hi:[1,0,0]
	v_pk_fma_f32 v[4:5], v[14:15], s[8:9], v[4:5] op_sel:[1,0,0] op_sel_hi:[0,0,1]
	v_mov_b32_e32 v6, v4
	v_mov_b32_e32 v7, v1
	;; [unrolled: 1-line block ×3, first 2 shown]
	v_pk_fma_f32 v[6:7], v[2:3], s[2:3], v[6:7] op_sel_hi:[1,0,1]
	v_pk_fma_f32 v[0:1], v[2:3], s[2:3], v[0:1] op_sel_hi:[1,0,1]
	ds_write2_b64 v95, v[0:1], v[6:7] offset0:62 offset1:187
	ds_write_b64 v71, v[10:11] offset:24000
	s_waitcnt lgkmcnt(0)
	s_barrier
	ds_read2_b64 v[0:3], v79 offset0:116 offset1:241
	ds_read2_b64 v[4:7], v208 offset1:125
	ds_read2_b64 v[8:11], v127 offset0:98 offset1:223
	ds_read2_b64 v[12:15], v147 offset0:86 offset1:211
	;; [unrolled: 1-line block ×3, first 2 shown]
	s_waitcnt lgkmcnt(4)
	v_pk_mul_f32 v[20:21], v[108:109], v[2:3] op_sel:[1,0]
	s_nop 0
	v_pk_fma_f32 v[30:31], v[108:109], v[2:3], v[20:21] op_sel:[0,0,1] op_sel_hi:[1,1,0]
	v_pk_fma_f32 v[2:3], v[108:109], v[2:3], v[20:21] op_sel:[0,0,1] op_sel_hi:[0,1,0] neg_lo:[0,0,1] neg_hi:[0,0,1]
	v_accvgpr_read_b32 v2, a94
	v_mov_b32_e32 v31, v3
	s_waitcnt lgkmcnt(2)
	v_pk_mul_f32 v[2:3], v[2:3], v[8:9] op_sel_hi:[0,1]
	v_pk_fma_f32 v[32:33], v[110:111], v[8:9], v[2:3] op_sel:[0,0,1] op_sel_hi:[1,1,0]
	v_pk_fma_f32 v[2:3], v[110:111], v[8:9], v[2:3] op_sel:[0,0,1] op_sel_hi:[0,1,0] neg_lo:[0,0,1] neg_hi:[0,0,1]
	v_mov_b32_e32 v33, v3
	s_waitcnt lgkmcnt(1)
	v_pk_mul_f32 v[2:3], v[100:101], v[14:15] op_sel:[1,0]
	v_accvgpr_read_b32 v8, a96
	v_pk_fma_f32 v[34:35], v[100:101], v[14:15], v[2:3] op_sel:[0,0,1] op_sel_hi:[1,1,0]
	v_pk_fma_f32 v[2:3], v[100:101], v[14:15], v[2:3] op_sel:[0,0,1] op_sel_hi:[0,1,0] neg_lo:[0,0,1] neg_hi:[0,0,1]
	v_accvgpr_read_b32 v2, a102
	v_mov_b32_e32 v35, v3
	s_waitcnt lgkmcnt(0)
	v_pk_mul_f32 v[2:3], v[2:3], v[16:17] op_sel_hi:[0,1]
	v_pk_fma_f32 v[36:37], v[102:103], v[16:17], v[2:3] op_sel:[0,0,1] op_sel_hi:[1,1,0]
	v_pk_fma_f32 v[2:3], v[102:103], v[16:17], v[2:3] op_sel:[0,0,1] op_sel_hi:[0,1,0] neg_lo:[0,0,1] neg_hi:[0,0,1]
	ds_read2_b64 v[14:17], v207 offset0:110 offset1:235
	ds_read2_b64 v[20:23], v151 offset0:80 offset1:205
	v_pk_mul_f32 v[8:9], v[8:9], v[10:11] op_sel_hi:[0,1]
	v_pk_fma_f32 v[38:39], v[126:127], v[10:11], v[8:9] op_sel:[0,0,1] op_sel_hi:[1,1,0]
	v_pk_fma_f32 v[8:9], v[126:127], v[10:11], v[8:9] op_sel:[0,0,1] op_sel_hi:[0,1,0] neg_lo:[0,0,1] neg_hi:[0,0,1]
	v_mov_b32_e32 v39, v9
	s_waitcnt lgkmcnt(0)
	v_pk_mul_f32 v[8:9], v[120:121], v[20:21] op_sel:[1,0]
	v_pk_mul_f32 v[10:11], v[124:125], v[14:15] op_sel:[1,0]
	v_pk_fma_f32 v[42:43], v[120:121], v[20:21], v[8:9] op_sel:[0,0,1] op_sel_hi:[1,1,0]
	v_pk_fma_f32 v[8:9], v[120:121], v[20:21], v[8:9] op_sel:[0,0,1] op_sel_hi:[0,1,0] neg_lo:[0,0,1] neg_hi:[0,0,1]
	v_accvgpr_read_b32 v8, a100
	v_pk_fma_f32 v[40:41], v[124:125], v[14:15], v[10:11] op_sel:[0,0,1] op_sel_hi:[1,1,0]
	v_pk_fma_f32 v[10:11], v[124:125], v[14:15], v[10:11] op_sel:[0,0,1] op_sel_hi:[0,1,0] neg_lo:[0,0,1] neg_hi:[0,0,1]
	v_mov_b32_e32 v43, v9
	v_pk_mul_f32 v[8:9], v[8:9], v[18:19] op_sel_hi:[0,1]
	v_mov_b32_e32 v41, v11
	v_pk_fma_f32 v[44:45], v[122:123], v[18:19], v[8:9] op_sel:[0,0,1] op_sel_hi:[1,1,0]
	v_pk_fma_f32 v[8:9], v[122:123], v[18:19], v[8:9] op_sel:[0,0,1] op_sel_hi:[0,1,0] neg_lo:[0,0,1] neg_hi:[0,0,1]
	v_mov_b32_e32 v45, v9
	v_pk_add_f32 v[8:9], v[6:7], v[40:41]
	v_pk_mul_f32 v[14:15], v[132:133], v[16:17] op_sel:[1,0]
	v_pk_add_f32 v[8:9], v[8:9], v[38:39]
	v_pk_fma_f32 v[24:25], v[132:133], v[16:17], v[14:15] op_sel:[0,0,1] op_sel_hi:[0,1,0] neg_lo:[0,0,1] neg_hi:[0,0,1]
	v_pk_add_f32 v[8:9], v[8:9], v[42:43]
	v_pk_fma_f32 v[48:49], v[132:133], v[16:17], v[14:15] op_sel:[0,0,1] op_sel_hi:[1,1,0]
	v_pk_add_f32 v[46:47], v[8:9], v[44:45]
	ds_read2_b64 v[8:11], v206 offset0:122 offset1:247
	ds_read2_b64 v[18:21], v111 offset0:92 offset1:217
	v_accvgpr_read_b32 v24, a106
	ds_read2_b64 v[14:17], v103 offset0:62 offset1:187
	v_mov_b32_e32 v49, v25
	v_mov_b32_e32 v37, v3
	s_waitcnt lgkmcnt(1)
	v_pk_mul_f32 v[24:25], v[24:25], v[18:19] op_sel_hi:[0,1]
	v_pk_fma_f32 v[50:51], v[134:135], v[18:19], v[24:25] op_sel:[0,0,1] op_sel_hi:[1,1,0]
	v_pk_fma_f32 v[18:19], v[134:135], v[18:19], v[24:25] op_sel:[0,0,1] op_sel_hi:[0,1,0] neg_lo:[0,0,1] neg_hi:[0,0,1]
	v_mov_b32_e32 v51, v19
	v_pk_mul_f32 v[18:19], v[128:129], v[22:23] op_sel:[1,0]
	v_pk_add_f32 v[62:63], v[30:31], v[36:37] neg_lo:[0,1] neg_hi:[0,1]
	v_pk_fma_f32 v[52:53], v[128:129], v[22:23], v[18:19] op_sel:[0,0,1] op_sel_hi:[1,1,0]
	v_pk_fma_f32 v[18:19], v[128:129], v[22:23], v[18:19] op_sel:[0,0,1] op_sel_hi:[0,1,0] neg_lo:[0,0,1] neg_hi:[0,0,1]
	v_accvgpr_read_b32 v18, a112
	ds_read2_b64 v[22:25], v205 offset0:104 offset1:229
	ds_read2_b64 v[26:29], v209 offset0:74 offset1:199
	v_mov_b32_e32 v53, v19
	s_waitcnt lgkmcnt(2)
	v_pk_mul_f32 v[18:19], v[18:19], v[14:15] op_sel_hi:[0,1]
	v_pk_fma_f32 v[54:55], v[130:131], v[14:15], v[18:19] op_sel:[0,0,1] op_sel_hi:[1,1,0]
	v_pk_fma_f32 v[14:15], v[130:131], v[14:15], v[18:19] op_sel:[0,0,1] op_sel_hi:[0,1,0] neg_lo:[0,0,1] neg_hi:[0,0,1]
	v_accvgpr_read_b32 v18, a108
	v_pk_mul_f32 v[18:19], v[18:19], v[20:21] op_sel_hi:[0,1]
	v_pk_fma_f32 v[56:57], v[142:143], v[20:21], v[18:19] op_sel:[0,0,1] op_sel_hi:[1,1,0]
	v_pk_fma_f32 v[18:19], v[142:143], v[20:21], v[18:19] op_sel:[0,0,1] op_sel_hi:[0,1,0] neg_lo:[0,0,1] neg_hi:[0,0,1]
	s_waitcnt lgkmcnt(1)
	v_pk_mul_f32 v[20:21], v[140:141], v[22:23] op_sel:[1,0]
	v_mov_b32_e32 v57, v19
	v_pk_fma_f32 v[58:59], v[140:141], v[22:23], v[20:21] op_sel:[0,0,1] op_sel_hi:[1,1,0]
	v_pk_fma_f32 v[20:21], v[140:141], v[22:23], v[20:21] op_sel:[0,0,1] op_sel_hi:[0,1,0] neg_lo:[0,0,1] neg_hi:[0,0,1]
	s_waitcnt lgkmcnt(0)
	v_pk_mul_f32 v[18:19], v[136:137], v[26:27] op_sel:[1,0]
	v_mov_b32_e32 v59, v21
	v_pk_fma_f32 v[20:21], v[136:137], v[26:27], v[18:19] op_sel:[0,0,1] op_sel_hi:[1,1,0]
	v_pk_fma_f32 v[18:19], v[136:137], v[26:27], v[18:19] op_sel:[0,0,1] op_sel_hi:[0,1,0] neg_lo:[0,0,1] neg_hi:[0,0,1]
	v_accvgpr_read_b32 v18, a110
	v_mov_b32_e32 v21, v19
	v_pk_mul_f32 v[18:19], v[18:19], v[16:17] op_sel_hi:[0,1]
	v_pk_mul_f32 v[26:27], v[148:149], v[24:25] op_sel:[1,0]
	v_pk_fma_f32 v[22:23], v[138:139], v[16:17], v[18:19] op_sel:[0,0,1] op_sel_hi:[1,1,0]
	v_pk_fma_f32 v[16:17], v[138:139], v[16:17], v[18:19] op_sel:[0,0,1] op_sel_hi:[0,1,0] neg_lo:[0,0,1] neg_hi:[0,0,1]
	ds_read_b64 v[18:19], v208 offset:24000
	v_pk_fma_f32 v[60:61], v[148:149], v[24:25], v[26:27] op_sel:[0,0,1] op_sel_hi:[1,1,0]
	v_pk_fma_f32 v[24:25], v[148:149], v[24:25], v[26:27] op_sel:[0,0,1] op_sel_hi:[0,1,0] neg_lo:[0,0,1] neg_hi:[0,0,1]
	v_mov_b32_e32 v61, v25
	v_pk_mul_f32 v[24:25], v[230:231], v[12:13] op_sel_hi:[0,1]
	v_pk_fma_f32 v[26:27], v[150:151], v[12:13], v[24:25] op_sel:[0,0,1] op_sel_hi:[1,1,0]
	v_pk_fma_f32 v[12:13], v[150:151], v[12:13], v[24:25] op_sel:[0,0,1] op_sel_hi:[0,1,0] neg_lo:[0,0,1] neg_hi:[0,0,1]
	v_mov_b32_e32 v27, v13
	v_pk_mul_f32 v[12:13], v[144:145], v[28:29] op_sel:[1,0]
	v_pk_mul_f32 v[64:65], v[62:63], s[6:7] op_sel_hi:[1,0]
	v_pk_fma_f32 v[24:25], v[144:145], v[28:29], v[12:13] op_sel:[0,0,1] op_sel_hi:[1,1,0]
	v_pk_fma_f32 v[12:13], v[144:145], v[28:29], v[12:13] op_sel:[0,0,1] op_sel_hi:[0,1,0] neg_lo:[0,0,1] neg_hi:[0,0,1]
	v_mov_b32_e32 v25, v13
	s_waitcnt lgkmcnt(0)
	v_pk_mul_f32 v[12:13], v[224:225], v[18:19] op_sel_hi:[0,1]
	v_pk_fma_f32 v[28:29], v[146:147], v[18:19], v[12:13] op_sel:[0,0,1] op_sel_hi:[1,1,0]
	v_pk_fma_f32 v[12:13], v[146:147], v[18:19], v[12:13] op_sel:[0,0,1] op_sel_hi:[0,1,0] neg_lo:[0,0,1] neg_hi:[0,0,1]
	v_pk_add_f32 v[18:19], v[32:33], v[34:35]
	v_pk_add_f32 v[66:67], v[32:33], v[34:35] neg_lo:[0,1] neg_hi:[0,1]
	v_pk_fma_f32 v[18:19], v[18:19], 0.5, v[4:5] op_sel_hi:[1,0,1] neg_lo:[1,0,0] neg_hi:[1,0,0]
	v_pk_add_f32 v[70:71], v[30:31], v[32:33] neg_lo:[0,1] neg_hi:[0,1]
	v_pk_add_f32 v[72:73], v[36:37], v[34:35] neg_lo:[0,1] neg_hi:[0,1]
	v_pk_mul_f32 v[68:69], v[66:67], s[8:9] op_sel_hi:[1,0]
	v_pk_add_f32 v[70:71], v[70:71], v[72:73]
	v_pk_add_f32 v[72:73], v[18:19], v[64:65] op_sel:[0,1] op_sel_hi:[1,0] neg_lo:[0,1] neg_hi:[0,1]
	v_pk_add_f32 v[18:19], v[18:19], v[64:65] op_sel:[0,1] op_sel_hi:[1,0]
	v_pk_add_f32 v[64:65], v[72:73], v[68:69] op_sel:[0,1] op_sel_hi:[1,0] neg_lo:[0,1] neg_hi:[0,1]
	v_pk_add_f32 v[18:19], v[18:19], v[68:69] op_sel:[0,1] op_sel_hi:[1,0]
	v_mov_b32_e32 v68, v64
	v_mov_b32_e32 v69, v19
	v_pk_add_f32 v[2:3], v[4:5], v[30:31]
	v_pk_fma_f32 v[68:69], v[70:71], s[2:3], v[68:69] op_sel_hi:[1,0,1]
	v_pk_add_f32 v[2:3], v[2:3], v[32:33]
	ds_write_b64 v208, v[68:69] offset:5000
	v_pk_add_f32 v[68:69], v[30:31], v[36:37]
	v_pk_add_f32 v[30:31], v[32:33], v[30:31] neg_lo:[0,1] neg_hi:[0,1]
	v_pk_add_f32 v[32:33], v[34:35], v[36:37] neg_lo:[0,1] neg_hi:[0,1]
	v_pk_add_f32 v[2:3], v[2:3], v[34:35]
	v_pk_fma_f32 v[4:5], v[68:69], 0.5, v[4:5] op_sel_hi:[1,0,1] neg_lo:[1,0,0] neg_hi:[1,0,0]
	v_pk_add_f32 v[30:31], v[30:31], v[32:33]
	v_pk_mul_f32 v[32:33], v[66:67], s[6:7] op_sel_hi:[1,0]
	v_pk_add_f32 v[2:3], v[2:3], v[36:37]
	v_pk_mul_f32 v[34:35], v[62:63], s[8:9] op_sel_hi:[1,0]
	v_pk_add_f32 v[36:37], v[4:5], v[32:33] op_sel:[0,1] op_sel_hi:[1,0]
	v_pk_add_f32 v[4:5], v[4:5], v[32:33] op_sel:[0,1] op_sel_hi:[1,0] neg_lo:[0,1] neg_hi:[0,1]
	v_pk_add_f32 v[32:33], v[36:37], v[34:35] op_sel:[0,1] op_sel_hi:[1,0] neg_lo:[0,1] neg_hi:[0,1]
	v_pk_add_f32 v[4:5], v[4:5], v[34:35] op_sel:[0,1] op_sel_hi:[1,0]
	v_mov_b32_e32 v34, v32
	v_mov_b32_e32 v35, v5
	;; [unrolled: 1-line block ×3, first 2 shown]
	v_pk_fma_f32 v[4:5], v[30:31], s[2:3], v[4:5] op_sel_hi:[1,0,1]
	v_mov_b32_e32 v19, v65
	v_pk_fma_f32 v[34:35], v[30:31], s[2:3], v[34:35] op_sel_hi:[1,0,1]
	ds_write_b64 v208, v[4:5] offset:15000
	v_pk_fma_f32 v[4:5], v[70:71], s[2:3], v[18:19] op_sel_hi:[1,0,1]
	ds_write_b64 v208, v[34:35] offset:10000
	ds_write_b64 v208, v[4:5] offset:20000
	ds_write2_b64 v208, v[2:3], v[46:47] offset1:125
	v_pk_add_f32 v[2:3], v[38:39], v[42:43]
	v_pk_add_f32 v[4:5], v[40:41], v[44:45] neg_lo:[0,1] neg_hi:[0,1]
	v_pk_fma_f32 v[2:3], v[2:3], 0.5, v[6:7] op_sel_hi:[1,0,1] neg_lo:[1,0,0] neg_hi:[1,0,0]
	v_pk_mul_f32 v[18:19], v[4:5], s[6:7] op_sel_hi:[1,0]
	v_pk_add_f32 v[30:31], v[38:39], v[42:43] neg_lo:[0,1] neg_hi:[0,1]
	v_pk_add_f32 v[34:35], v[40:41], v[38:39] neg_lo:[0,1] neg_hi:[0,1]
	;; [unrolled: 1-line block ×3, first 2 shown]
	v_pk_mul_f32 v[32:33], v[30:31], s[8:9] op_sel_hi:[1,0]
	v_pk_add_f32 v[34:35], v[34:35], v[36:37]
	v_pk_add_f32 v[36:37], v[2:3], v[18:19] op_sel:[0,1] op_sel_hi:[1,0] neg_lo:[0,1] neg_hi:[0,1]
	v_pk_add_f32 v[2:3], v[2:3], v[18:19] op_sel:[0,1] op_sel_hi:[1,0]
	v_pk_add_f32 v[18:19], v[36:37], v[32:33] op_sel:[0,1] op_sel_hi:[1,0] neg_lo:[0,1] neg_hi:[0,1]
	v_pk_add_f32 v[36:37], v[40:41], v[44:45]
	v_pk_mul_f32 v[30:31], v[30:31], s[6:7] op_sel_hi:[1,0]
	v_pk_fma_f32 v[6:7], v[36:37], 0.5, v[6:7] op_sel_hi:[1,0,1] neg_lo:[1,0,0] neg_hi:[1,0,0]
	v_pk_add_f32 v[36:37], v[38:39], v[40:41] neg_lo:[0,1] neg_hi:[0,1]
	v_pk_add_f32 v[38:39], v[42:43], v[44:45] neg_lo:[0,1] neg_hi:[0,1]
	v_pk_mul_f32 v[4:5], v[4:5], s[8:9] op_sel_hi:[1,0]
	v_pk_add_f32 v[36:37], v[36:37], v[38:39]
	v_pk_add_f32 v[38:39], v[6:7], v[30:31] op_sel:[0,1] op_sel_hi:[1,0]
	v_pk_add_f32 v[6:7], v[6:7], v[30:31] op_sel:[0,1] op_sel_hi:[1,0] neg_lo:[0,1] neg_hi:[0,1]
	v_mov_b32_e32 v55, v15
	v_pk_add_f32 v[6:7], v[6:7], v[4:5] op_sel:[0,1] op_sel_hi:[1,0]
	v_pk_add_f32 v[4:5], v[38:39], v[4:5] op_sel:[0,1] op_sel_hi:[1,0] neg_lo:[0,1] neg_hi:[0,1]
	v_pk_add_f32 v[2:3], v[2:3], v[32:33] op_sel:[0,1] op_sel_hi:[1,0]
	v_mov_b32_e32 v31, v7
	v_mov_b32_e32 v7, v5
	;; [unrolled: 1-line block ×5, first 2 shown]
	v_pk_fma_f32 v[4:5], v[36:37], s[2:3], v[6:7] op_sel_hi:[1,0,1]
	v_mov_b32_e32 v3, v19
	v_pk_add_f32 v[6:7], v[50:51], v[52:53]
	v_pk_add_f32 v[18:19], v[48:49], v[54:55] neg_lo:[0,1] neg_hi:[0,1]
	v_pk_fma_f32 v[32:33], v[34:35], s[2:3], v[32:33] op_sel_hi:[1,0,1]
	v_pk_fma_f32 v[30:31], v[36:37], s[2:3], v[30:31] op_sel_hi:[1,0,1]
	;; [unrolled: 1-line block ×3, first 2 shown]
	v_pk_fma_f32 v[6:7], v[6:7], 0.5, v[8:9] op_sel_hi:[1,0,1] neg_lo:[1,0,0] neg_hi:[1,0,0]
	v_pk_mul_f32 v[34:35], v[18:19], s[6:7] op_sel_hi:[1,0]
	v_pk_add_f32 v[36:37], v[50:51], v[52:53] neg_lo:[0,1] neg_hi:[0,1]
	v_pk_add_f32 v[40:41], v[48:49], v[50:51] neg_lo:[0,1] neg_hi:[0,1]
	;; [unrolled: 1-line block ×3, first 2 shown]
	v_pk_mul_f32 v[38:39], v[36:37], s[8:9] op_sel_hi:[1,0]
	v_pk_add_f32 v[40:41], v[40:41], v[42:43]
	v_pk_add_f32 v[42:43], v[6:7], v[34:35] op_sel:[0,1] op_sel_hi:[1,0] neg_lo:[0,1] neg_hi:[0,1]
	v_pk_add_f32 v[6:7], v[6:7], v[34:35] op_sel:[0,1] op_sel_hi:[1,0]
	v_pk_add_f32 v[34:35], v[42:43], v[38:39] op_sel:[0,1] op_sel_hi:[1,0] neg_lo:[0,1] neg_hi:[0,1]
	v_pk_add_f32 v[6:7], v[6:7], v[38:39] op_sel:[0,1] op_sel_hi:[1,0]
	v_mov_b32_e32 v38, v34
	v_mov_b32_e32 v39, v7
	v_pk_fma_f32 v[38:39], v[40:41], s[2:3], v[38:39] op_sel_hi:[1,0,1]
	ds_write2_b64 v207, v[32:33], v[38:39] offset0:110 offset1:235
	v_pk_add_f32 v[32:33], v[48:49], v[54:55]
	v_pk_add_f32 v[14:15], v[8:9], v[48:49]
	v_pk_fma_f32 v[8:9], v[32:33], 0.5, v[8:9] op_sel_hi:[1,0,1] neg_lo:[1,0,0] neg_hi:[1,0,0]
	v_pk_add_f32 v[32:33], v[50:51], v[48:49] neg_lo:[0,1] neg_hi:[0,1]
	v_pk_add_f32 v[38:39], v[52:53], v[54:55] neg_lo:[0,1] neg_hi:[0,1]
	v_pk_mul_f32 v[36:37], v[36:37], s[6:7] op_sel_hi:[1,0]
	v_pk_add_f32 v[32:33], v[32:33], v[38:39]
	v_pk_mul_f32 v[18:19], v[18:19], s[8:9] op_sel_hi:[1,0]
	v_pk_add_f32 v[38:39], v[8:9], v[36:37] op_sel:[0,1] op_sel_hi:[1,0]
	v_pk_add_f32 v[8:9], v[8:9], v[36:37] op_sel:[0,1] op_sel_hi:[1,0] neg_lo:[0,1] neg_hi:[0,1]
	v_mov_b32_e32 v23, v17
	v_pk_add_f32 v[8:9], v[8:9], v[18:19] op_sel:[0,1] op_sel_hi:[1,0]
	v_pk_add_f32 v[18:19], v[38:39], v[18:19] op_sel:[0,1] op_sel_hi:[1,0] neg_lo:[0,1] neg_hi:[0,1]
	v_pk_add_f32 v[16:17], v[10:11], v[58:59]
	v_mov_b32_e32 v37, v9
	v_mov_b32_e32 v9, v19
	v_pk_add_f32 v[14:15], v[14:15], v[50:51]
	v_pk_add_f32 v[16:17], v[16:17], v[56:57]
	v_mov_b32_e32 v36, v18
	v_pk_fma_f32 v[8:9], v[32:33], s[2:3], v[8:9] op_sel_hi:[1,0,1]
	v_mov_b32_e32 v7, v35
	v_pk_add_f32 v[14:15], v[14:15], v[52:53]
	v_pk_add_f32 v[16:17], v[16:17], v[20:21]
	v_pk_fma_f32 v[36:37], v[32:33], s[2:3], v[36:37] op_sel_hi:[1,0,1]
	ds_write2_b64 v151, v[4:5], v[8:9] offset0:80 offset1:205
	v_pk_fma_f32 v[4:5], v[40:41], s[2:3], v[6:7] op_sel_hi:[1,0,1]
	v_pk_add_f32 v[14:15], v[14:15], v[54:55]
	v_pk_add_f32 v[16:17], v[16:17], v[22:23]
	ds_write2_b64 v139, v[30:31], v[36:37] offset0:95 offset1:220
	ds_write2_b64 v143, v[2:3], v[4:5] offset0:65 offset1:190
	;; [unrolled: 1-line block ×3, first 2 shown]
	v_pk_add_f32 v[2:3], v[56:57], v[20:21]
	v_pk_add_f32 v[4:5], v[58:59], v[22:23] neg_lo:[0,1] neg_hi:[0,1]
	v_pk_fma_f32 v[2:3], v[2:3], 0.5, v[10:11] op_sel_hi:[1,0,1] neg_lo:[1,0,0] neg_hi:[1,0,0]
	v_pk_mul_f32 v[6:7], v[4:5], s[6:7] op_sel_hi:[1,0]
	v_pk_add_f32 v[8:9], v[56:57], v[20:21] neg_lo:[0,1] neg_hi:[0,1]
	v_pk_add_f32 v[16:17], v[58:59], v[56:57] neg_lo:[0,1] neg_hi:[0,1]
	;; [unrolled: 1-line block ×3, first 2 shown]
	v_pk_mul_f32 v[14:15], v[8:9], s[8:9] op_sel_hi:[1,0]
	v_pk_add_f32 v[16:17], v[16:17], v[18:19]
	v_pk_add_f32 v[18:19], v[2:3], v[6:7] op_sel:[0,1] op_sel_hi:[1,0] neg_lo:[0,1] neg_hi:[0,1]
	v_pk_add_f32 v[2:3], v[2:3], v[6:7] op_sel:[0,1] op_sel_hi:[1,0]
	v_pk_add_f32 v[6:7], v[18:19], v[14:15] op_sel:[0,1] op_sel_hi:[1,0] neg_lo:[0,1] neg_hi:[0,1]
	v_pk_add_f32 v[18:19], v[58:59], v[22:23]
	v_pk_add_f32 v[20:21], v[20:21], v[22:23] neg_lo:[0,1] neg_hi:[0,1]
	v_pk_fma_f32 v[10:11], v[18:19], 0.5, v[10:11] op_sel_hi:[1,0,1] neg_lo:[1,0,0] neg_hi:[1,0,0]
	v_pk_add_f32 v[18:19], v[56:57], v[58:59] neg_lo:[0,1] neg_hi:[0,1]
	v_pk_mul_f32 v[8:9], v[8:9], s[6:7] op_sel_hi:[1,0]
	v_mov_b32_e32 v29, v13
	v_pk_add_f32 v[12:13], v[0:1], v[60:61]
	v_pk_add_f32 v[18:19], v[18:19], v[20:21]
	v_pk_mul_f32 v[4:5], v[4:5], s[8:9] op_sel_hi:[1,0]
	v_pk_add_f32 v[20:21], v[10:11], v[8:9] op_sel:[0,1] op_sel_hi:[1,0]
	v_pk_add_f32 v[8:9], v[10:11], v[8:9] op_sel:[0,1] op_sel_hi:[1,0] neg_lo:[0,1] neg_hi:[0,1]
	v_pk_add_f32 v[12:13], v[12:13], v[26:27]
	v_pk_add_f32 v[8:9], v[8:9], v[4:5] op_sel:[0,1] op_sel_hi:[1,0]
	v_pk_add_f32 v[4:5], v[20:21], v[4:5] op_sel:[0,1] op_sel_hi:[1,0] neg_lo:[0,1] neg_hi:[0,1]
	v_pk_add_f32 v[12:13], v[12:13], v[24:25]
	v_pk_add_f32 v[2:3], v[2:3], v[14:15] op_sel:[0,1] op_sel_hi:[1,0]
	v_mov_b32_e32 v11, v9
	v_mov_b32_e32 v9, v5
	v_pk_add_f32 v[12:13], v[12:13], v[28:29]
	v_mov_b32_e32 v14, v6
	v_mov_b32_e32 v15, v3
	;; [unrolled: 1-line block ×3, first 2 shown]
	v_pk_fma_f32 v[4:5], v[18:19], s[2:3], v[8:9] op_sel_hi:[1,0,1]
	v_mov_b32_e32 v3, v7
	v_pk_add_f32 v[6:7], v[26:27], v[24:25]
	v_pk_add_f32 v[8:9], v[60:61], v[28:29] neg_lo:[0,1] neg_hi:[0,1]
	v_pk_fma_f32 v[14:15], v[16:17], s[2:3], v[14:15] op_sel_hi:[1,0,1]
	v_pk_fma_f32 v[2:3], v[16:17], s[2:3], v[2:3] op_sel_hi:[1,0,1]
	ds_write_b64 v208, v[12:13] offset:4000
	v_pk_fma_f32 v[6:7], v[6:7], 0.5, v[0:1] op_sel_hi:[1,0,1] neg_lo:[1,0,0] neg_hi:[1,0,0]
	v_pk_mul_f32 v[12:13], v[8:9], s[6:7] op_sel_hi:[1,0]
	v_pk_add_f32 v[16:17], v[26:27], v[24:25] neg_lo:[0,1] neg_hi:[0,1]
	v_pk_add_f32 v[20:21], v[60:61], v[26:27] neg_lo:[0,1] neg_hi:[0,1]
	;; [unrolled: 1-line block ×3, first 2 shown]
	v_pk_fma_f32 v[10:11], v[18:19], s[2:3], v[10:11] op_sel_hi:[1,0,1]
	v_pk_mul_f32 v[18:19], v[16:17], s[8:9] op_sel_hi:[1,0]
	v_pk_add_f32 v[20:21], v[20:21], v[22:23]
	v_pk_add_f32 v[22:23], v[6:7], v[12:13] op_sel:[0,1] op_sel_hi:[1,0] neg_lo:[0,1] neg_hi:[0,1]
	v_pk_add_f32 v[6:7], v[6:7], v[12:13] op_sel:[0,1] op_sel_hi:[1,0]
	v_pk_add_f32 v[12:13], v[22:23], v[18:19] op_sel:[0,1] op_sel_hi:[1,0] neg_lo:[0,1] neg_hi:[0,1]
	v_pk_add_f32 v[6:7], v[6:7], v[18:19] op_sel:[0,1] op_sel_hi:[1,0]
	v_mov_b32_e32 v18, v12
	v_mov_b32_e32 v19, v7
	v_pk_fma_f32 v[18:19], v[20:21], s[2:3], v[18:19] op_sel_hi:[1,0,1]
	ds_write2_b64 v205, v[14:15], v[18:19] offset0:104 offset1:229
	v_pk_add_f32 v[14:15], v[60:61], v[28:29]
	v_pk_add_f32 v[18:19], v[24:25], v[28:29] neg_lo:[0,1] neg_hi:[0,1]
	v_pk_fma_f32 v[0:1], v[14:15], 0.5, v[0:1] op_sel_hi:[1,0,1] neg_lo:[1,0,0] neg_hi:[1,0,0]
	v_pk_add_f32 v[14:15], v[26:27], v[60:61] neg_lo:[0,1] neg_hi:[0,1]
	v_pk_mul_f32 v[16:17], v[16:17], s[6:7] op_sel_hi:[1,0]
	v_pk_add_f32 v[14:15], v[14:15], v[18:19]
	v_pk_mul_f32 v[8:9], v[8:9], s[8:9] op_sel_hi:[1,0]
	v_pk_add_f32 v[18:19], v[0:1], v[16:17] op_sel:[0,1] op_sel_hi:[1,0]
	v_pk_add_f32 v[0:1], v[0:1], v[16:17] op_sel:[0,1] op_sel_hi:[1,0] neg_lo:[0,1] neg_hi:[0,1]
	v_mov_b32_e32 v7, v13
	v_pk_add_f32 v[0:1], v[0:1], v[8:9] op_sel:[0,1] op_sel_hi:[1,0]
	v_pk_add_f32 v[8:9], v[18:19], v[8:9] op_sel:[0,1] op_sel_hi:[1,0] neg_lo:[0,1] neg_hi:[0,1]
	v_mov_b32_e32 v17, v1
	v_mov_b32_e32 v1, v9
	;; [unrolled: 1-line block ×3, first 2 shown]
	v_pk_fma_f32 v[0:1], v[14:15], s[2:3], v[0:1] op_sel_hi:[1,0,1]
	v_pk_fma_f32 v[16:17], v[14:15], s[2:3], v[16:17] op_sel_hi:[1,0,1]
	ds_write2_b64 v209, v[4:5], v[0:1] offset0:74 offset1:199
	v_pk_fma_f32 v[0:1], v[20:21], s[2:3], v[6:7] op_sel_hi:[1,0,1]
	ds_write2_b64 v131, v[10:11], v[16:17] offset0:89 offset1:214
	ds_write2_b64 v135, v[2:3], v[0:1] offset0:59 offset1:184
	s_waitcnt lgkmcnt(0)
	s_barrier
	ds_read2_b64 v[4:7], v208 offset1:125
	v_accvgpr_read_b32 v2, a26
	v_accvgpr_read_b32 v3, a27
	v_mov_b32_e32 v8, s0
	v_mov_b32_e32 v9, s1
	s_waitcnt lgkmcnt(0)
	v_mul_f32_e32 v0, v3, v5
	v_fmac_f32_e32 v0, v2, v4
	s_mov_b32 s0, 0x88e368f1
	v_cvt_f64_f32_e32 v[0:1], v0
	s_mov_b32 s1, 0x3f34f8b5
	v_mul_f64 v[0:1], v[0:1], s[0:1]
	v_cvt_f32_f64_e32 v10, v[0:1]
	v_mul_f32_e32 v0, v3, v4
	v_fma_f32 v0, v2, v5, -v0
	v_cvt_f64_f32_e32 v[0:1], v0
	v_mul_f64 v[0:1], v[0:1], s[0:1]
	v_mad_u64_u32 v[4:5], s[2:3], s4, v204, 0
	v_cvt_f32_f64_e32 v11, v[0:1]
	v_mov_b32_e32 v0, v5
	v_accvgpr_read_b32 v14, a0
	v_accvgpr_read_b32 v15, a2
	v_mad_u64_u32 v[12:13], s[2:3], s5, v204, v[0:1]
	ds_read2_b64 v[0:3], v79 offset0:116 offset1:241
	v_mov_b32_e32 v5, v12
	v_lshl_add_u64 v[8:9], v[14:15], 3, v[8:9]
	v_lshl_add_u64 v[4:5], v[4:5], 3, v[8:9]
	global_store_dwordx2 v[4:5], v[10:11], off
	v_accvgpr_read_b32 v10, a22
	v_accvgpr_read_b32 v11, a23
	s_waitcnt lgkmcnt(0)
	v_mul_f32_e32 v8, v11, v3
	v_fmac_f32_e32 v8, v10, v2
	v_cvt_f64_f32_e32 v[8:9], v8
	v_mul_f64 v[8:9], v[8:9], s[0:1]
	v_mul_f32_e32 v2, v11, v2
	v_cvt_f32_f64_e32 v12, v[8:9]
	v_fma_f32 v2, v10, v3, -v2
	ds_read2_b64 v[8:11], v127 offset0:98 offset1:223
	v_cvt_f64_f32_e32 v[2:3], v2
	v_mad_u64_u32 v[14:15], s[2:3], s4, v251, v[4:5]
	v_accvgpr_read_b32 v4, a36
	v_mul_f64 v[2:3], v[2:3], s[0:1]
	v_accvgpr_read_b32 v5, a37
	v_cvt_f32_f64_e32 v13, v[2:3]
	s_waitcnt lgkmcnt(0)
	v_mul_f32_e32 v2, v5, v9
	v_fmac_f32_e32 v2, v4, v8
	s_mul_i32 s2, s5, 0x1388
	v_cvt_f64_f32_e32 v[2:3], v2
	v_add_u32_e32 v15, s2, v15
	v_mul_f64 v[2:3], v[2:3], s[0:1]
	global_store_dwordx2 v[14:15], v[12:13], off
	v_cvt_f32_f64_e32 v12, v[2:3]
	v_mul_f32_e32 v2, v5, v8
	v_fma_f32 v2, v4, v9, -v2
	v_cvt_f64_f32_e32 v[2:3], v2
	v_mul_f64 v[2:3], v[2:3], s[0:1]
	v_cvt_f32_f64_e32 v13, v[2:3]
	ds_read2_b64 v[2:5], v147 offset0:86 offset1:211
	v_mad_u64_u32 v[8:9], s[6:7], s4, v251, v[14:15]
	v_accvgpr_read_b32 v14, a40
	v_add_u32_e32 v9, s2, v9
	v_accvgpr_read_b32 v15, a41
	global_store_dwordx2 v[8:9], v[12:13], off
	s_waitcnt lgkmcnt(0)
	v_mul_f32_e32 v12, v15, v5
	v_fmac_f32_e32 v12, v14, v4
	v_mul_f32_e32 v4, v15, v4
	v_cvt_f64_f32_e32 v[12:13], v12
	v_fma_f32 v4, v14, v5, -v4
	v_mul_f64 v[12:13], v[12:13], s[0:1]
	v_cvt_f64_f32_e32 v[4:5], v4
	v_cvt_f32_f64_e32 v16, v[12:13]
	v_mul_f64 v[4:5], v[4:5], s[0:1]
	ds_read2_b64 v[12:15], v123 offset0:68 offset1:193
	v_cvt_f32_f64_e32 v17, v[4:5]
	v_mad_u64_u32 v[4:5], s[6:7], s4, v251, v[8:9]
	v_add_u32_e32 v5, s2, v5
	global_store_dwordx2 v[4:5], v[16:17], off
	v_accvgpr_read_b32 v16, a38
	v_accvgpr_read_b32 v17, a39
	s_waitcnt lgkmcnt(0)
	v_mul_f32_e32 v8, v17, v13
	v_fmac_f32_e32 v8, v16, v12
	v_cvt_f64_f32_e32 v[8:9], v8
	v_mul_f64 v[8:9], v[8:9], s[0:1]
	v_cvt_f32_f64_e32 v8, v[8:9]
	v_mul_f32_e32 v9, v17, v12
	v_fma_f32 v9, v16, v13, -v9
	v_cvt_f64_f32_e32 v[12:13], v9
	v_mul_f64 v[12:13], v[12:13], s[0:1]
	v_cvt_f32_f64_e32 v9, v[12:13]
	v_mad_u64_u32 v[4:5], s[6:7], s4, v251, v[4:5]
	v_accvgpr_read_b32 v12, a34
	v_add_u32_e32 v5, s2, v5
	v_accvgpr_read_b32 v13, a35
	global_store_dwordx2 v[4:5], v[8:9], off
	v_mul_f32_e32 v8, v13, v7
	v_fmac_f32_e32 v8, v12, v6
	v_mul_f32_e32 v6, v13, v6
	v_fma_f32 v6, v12, v7, -v6
	v_cvt_f64_f32_e32 v[8:9], v8
	v_cvt_f64_f32_e32 v[6:7], v6
	v_mul_f64 v[8:9], v[8:9], s[0:1]
	v_mul_f64 v[6:7], v[6:7], s[0:1]
	v_mov_b32_e32 v16, 0xffffb5c8
	v_cvt_f32_f64_e32 v8, v[8:9]
	v_cvt_f32_f64_e32 v9, v[6:7]
	v_mad_u64_u32 v[12:13], s[6:7], s4, v16, v[4:5]
	ds_read2_b64 v[4:7], v207 offset0:110 offset1:235
	s_mul_i32 s3, s5, 0xffffb5c8
	s_sub_i32 s3, s3, s4
	v_accvgpr_read_b32 v18, a32
	v_add_u32_e32 v13, s3, v13
	v_accvgpr_read_b32 v19, a33
	global_store_dwordx2 v[12:13], v[8:9], off
	s_waitcnt lgkmcnt(0)
	v_mul_f32_e32 v8, v19, v5
	v_fmac_f32_e32 v8, v18, v4
	v_mul_f32_e32 v4, v19, v4
	v_fma_f32 v4, v18, v5, -v4
	v_cvt_f64_f32_e32 v[8:9], v8
	v_cvt_f64_f32_e32 v[4:5], v4
	v_mul_f64 v[8:9], v[8:9], s[0:1]
	v_mul_f64 v[4:5], v[4:5], s[0:1]
	v_cvt_f32_f64_e32 v8, v[8:9]
	v_cvt_f32_f64_e32 v9, v[4:5]
	v_mad_u64_u32 v[4:5], s[6:7], s4, v251, v[12:13]
	v_accvgpr_read_b32 v18, a30
	v_add_u32_e32 v5, s2, v5
	v_accvgpr_read_b32 v19, a31
	global_store_dwordx2 v[4:5], v[8:9], off
	v_mul_f32_e32 v8, v19, v11
	v_fmac_f32_e32 v8, v18, v10
	v_cvt_f64_f32_e32 v[8:9], v8
	v_mul_f64 v[8:9], v[8:9], s[0:1]
	v_cvt_f32_f64_e32 v12, v[8:9]
	v_mul_f32_e32 v8, v19, v10
	v_fma_f32 v8, v18, v11, -v8
	v_cvt_f64_f32_e32 v[8:9], v8
	v_mul_f64 v[8:9], v[8:9], s[0:1]
	v_cvt_f32_f64_e32 v13, v[8:9]
	ds_read2_b64 v[8:11], v151 offset0:80 offset1:205
	v_mad_u64_u32 v[4:5], s[6:7], s4, v251, v[4:5]
	v_add_u32_e32 v5, s2, v5
	global_store_dwordx2 v[4:5], v[12:13], off
	s_waitcnt lgkmcnt(0)
	v_mul_f32_e32 v12, v215, v9
	v_fmac_f32_e32 v12, v214, v8
	v_mul_f32_e32 v8, v215, v8
	v_fma_f32 v8, v214, v9, -v8
	v_cvt_f64_f32_e32 v[12:13], v12
	v_cvt_f64_f32_e32 v[8:9], v8
	v_mul_f64 v[12:13], v[12:13], s[0:1]
	v_mul_f64 v[8:9], v[8:9], s[0:1]
	v_cvt_f32_f64_e32 v12, v[12:13]
	v_cvt_f32_f64_e32 v13, v[8:9]
	v_mul_f32_e32 v8, v221, v15
	v_fmac_f32_e32 v8, v220, v14
	v_cvt_f64_f32_e32 v[8:9], v8
	v_mul_f64 v[8:9], v[8:9], s[0:1]
	v_mad_u64_u32 v[4:5], s[6:7], s4, v251, v[4:5]
	v_cvt_f32_f64_e32 v8, v[8:9]
	v_mul_f32_e32 v9, v221, v14
	v_add_u32_e32 v5, s2, v5
	v_fma_f32 v9, v220, v15, -v9
	global_store_dwordx2 v[4:5], v[12:13], off
	v_cvt_f64_f32_e32 v[12:13], v9
	v_mul_f64 v[12:13], v[12:13], s[0:1]
	v_cvt_f32_f64_e32 v9, v[12:13]
	ds_read2_b64 v[12:15], v206 offset0:122 offset1:247
	v_mad_u64_u32 v[4:5], s[6:7], s4, v251, v[4:5]
	v_accvgpr_read_b32 v18, a28
	v_add_u32_e32 v5, s2, v5
	v_accvgpr_read_b32 v19, a29
	global_store_dwordx2 v[4:5], v[8:9], off
	s_waitcnt lgkmcnt(0)
	v_mul_f32_e32 v8, v19, v13
	v_fmac_f32_e32 v8, v18, v12
	v_cvt_f64_f32_e32 v[8:9], v8
	v_mul_f64 v[8:9], v[8:9], s[0:1]
	v_cvt_f32_f64_e32 v8, v[8:9]
	v_mul_f32_e32 v9, v19, v12
	v_fma_f32 v9, v18, v13, -v9
	v_cvt_f64_f32_e32 v[12:13], v9
	v_accvgpr_read_b32 v18, a24
	v_mul_f64 v[12:13], v[12:13], s[0:1]
	v_accvgpr_read_b32 v19, a25
	v_cvt_f32_f64_e32 v9, v[12:13]
	v_mad_u64_u32 v[12:13], s[6:7], s4, v16, v[4:5]
	v_mul_f32_e32 v4, v19, v7
	v_fmac_f32_e32 v4, v18, v6
	v_cvt_f64_f32_e32 v[4:5], v4
	v_add_u32_e32 v13, s3, v13
	v_mul_f64 v[4:5], v[4:5], s[0:1]
	global_store_dwordx2 v[12:13], v[8:9], off
	v_cvt_f32_f64_e32 v8, v[4:5]
	v_mul_f32_e32 v4, v19, v6
	v_fma_f32 v4, v18, v7, -v4
	v_cvt_f64_f32_e32 v[4:5], v4
	v_mul_f64 v[4:5], v[4:5], s[0:1]
	v_cvt_f32_f64_e32 v9, v[4:5]
	ds_read2_b64 v[4:7], v111 offset0:92 offset1:217
	v_mad_u64_u32 v[12:13], s[6:7], s4, v251, v[12:13]
	v_accvgpr_read_b32 v18, a20
	v_add_u32_e32 v13, s2, v13
	v_accvgpr_read_b32 v19, a21
	global_store_dwordx2 v[12:13], v[8:9], off
	s_waitcnt lgkmcnt(0)
	v_mul_f32_e32 v8, v19, v5
	v_fmac_f32_e32 v8, v18, v4
	v_mul_f32_e32 v4, v19, v4
	v_fma_f32 v4, v18, v5, -v4
	v_cvt_f64_f32_e32 v[8:9], v8
	v_cvt_f64_f32_e32 v[4:5], v4
	v_mul_f64 v[8:9], v[8:9], s[0:1]
	v_mul_f64 v[4:5], v[4:5], s[0:1]
	v_cvt_f32_f64_e32 v8, v[8:9]
	v_cvt_f32_f64_e32 v9, v[4:5]
	v_mad_u64_u32 v[4:5], s[6:7], s4, v251, v[12:13]
	v_add_u32_e32 v5, s2, v5
	global_store_dwordx2 v[4:5], v[8:9], off
	v_mul_f32_e32 v8, v217, v11
	v_fmac_f32_e32 v8, v216, v10
	v_cvt_f64_f32_e32 v[8:9], v8
	v_mul_f64 v[8:9], v[8:9], s[0:1]
	v_cvt_f32_f64_e32 v12, v[8:9]
	v_mul_f32_e32 v8, v217, v10
	v_fma_f32 v8, v216, v11, -v8
	v_cvt_f64_f32_e32 v[8:9], v8
	v_mul_f64 v[8:9], v[8:9], s[0:1]
	v_cvt_f32_f64_e32 v13, v[8:9]
	ds_read2_b64 v[8:11], v103 offset0:62 offset1:187
	v_mad_u64_u32 v[4:5], s[6:7], s4, v251, v[4:5]
	v_add_u32_e32 v5, s2, v5
	global_store_dwordx2 v[4:5], v[12:13], off
	s_waitcnt lgkmcnt(0)
	v_mul_f32_e32 v12, v219, v9
	v_fmac_f32_e32 v12, v218, v8
	v_mul_f32_e32 v8, v219, v8
	v_fma_f32 v8, v218, v9, -v8
	v_cvt_f64_f32_e32 v[12:13], v12
	v_cvt_f64_f32_e32 v[8:9], v8
	v_mul_f64 v[12:13], v[12:13], s[0:1]
	v_mul_f64 v[8:9], v[8:9], s[0:1]
	v_mad_u64_u32 v[4:5], s[6:7], s4, v251, v[4:5]
	v_cvt_f32_f64_e32 v12, v[12:13]
	v_cvt_f32_f64_e32 v13, v[8:9]
	v_add_u32_e32 v5, s2, v5
	global_store_dwordx2 v[4:5], v[12:13], off
	v_accvgpr_read_b32 v12, a18
	v_accvgpr_read_b32 v13, a19
	v_mul_f32_e32 v8, v13, v15
	v_fmac_f32_e32 v8, v12, v14
	v_cvt_f64_f32_e32 v[8:9], v8
	v_mul_f64 v[8:9], v[8:9], s[0:1]
	v_cvt_f32_f64_e32 v8, v[8:9]
	v_mul_f32_e32 v9, v13, v14
	v_fma_f32 v9, v12, v15, -v9
	v_cvt_f64_f32_e32 v[12:13], v9
	v_mul_f64 v[12:13], v[12:13], s[0:1]
	v_cvt_f32_f64_e32 v9, v[12:13]
	ds_read2_b64 v[12:15], v205 offset0:104 offset1:229
	v_mov_b32_e32 v16, 0xffffb5c8
	v_mad_u64_u32 v[4:5], s[6:7], s4, v16, v[4:5]
	v_add_u32_e32 v5, s3, v5
	v_accvgpr_read_b32 v19, a17
	global_store_dwordx2 v[4:5], v[8:9], off
	v_accvgpr_read_b32 v18, a16
	s_waitcnt lgkmcnt(0)
	v_mul_f32_e32 v8, v19, v13
	v_fmac_f32_e32 v8, v18, v12
	v_cvt_f64_f32_e32 v[8:9], v8
	v_mul_f64 v[8:9], v[8:9], s[0:1]
	v_cvt_f32_f64_e32 v8, v[8:9]
	v_mul_f32_e32 v9, v19, v12
	v_fma_f32 v9, v18, v13, -v9
	v_cvt_f64_f32_e32 v[12:13], v9
	v_mul_f64 v[12:13], v[12:13], s[0:1]
	v_accvgpr_read_b32 v19, a15
	v_cvt_f32_f64_e32 v9, v[12:13]
	v_mad_u64_u32 v[12:13], s[6:7], s4, v251, v[4:5]
	v_accvgpr_read_b32 v18, a14
	v_mul_f32_e32 v4, v19, v7
	v_fmac_f32_e32 v4, v18, v6
	v_cvt_f64_f32_e32 v[4:5], v4
	v_add_u32_e32 v13, s2, v13
	v_mul_f64 v[4:5], v[4:5], s[0:1]
	global_store_dwordx2 v[12:13], v[8:9], off
	v_cvt_f32_f64_e32 v8, v[4:5]
	v_mul_f32_e32 v4, v19, v6
	v_fma_f32 v4, v18, v7, -v4
	v_cvt_f64_f32_e32 v[4:5], v4
	v_mul_f64 v[4:5], v[4:5], s[0:1]
	v_cvt_f32_f64_e32 v9, v[4:5]
	ds_read2_b64 v[4:7], v209 offset0:74 offset1:199
	v_mad_u64_u32 v[12:13], s[6:7], s4, v251, v[12:13]
	v_add_u32_e32 v13, s2, v13
	v_accvgpr_read_b32 v19, a13
	global_store_dwordx2 v[12:13], v[8:9], off
	v_accvgpr_read_b32 v18, a12
	s_waitcnt lgkmcnt(0)
	v_mul_f32_e32 v8, v19, v5
	v_fmac_f32_e32 v8, v18, v4
	v_mul_f32_e32 v4, v19, v4
	v_fma_f32 v4, v18, v5, -v4
	v_cvt_f64_f32_e32 v[8:9], v8
	v_cvt_f64_f32_e32 v[4:5], v4
	v_mul_f64 v[8:9], v[8:9], s[0:1]
	v_mul_f64 v[4:5], v[4:5], s[0:1]
	v_cvt_f32_f64_e32 v8, v[8:9]
	v_cvt_f32_f64_e32 v9, v[4:5]
	v_mad_u64_u32 v[4:5], s[6:7], s4, v251, v[12:13]
	v_add_u32_e32 v5, s2, v5
	global_store_dwordx2 v[4:5], v[8:9], off
	v_mul_f32_e32 v8, v213, v11
	v_fmac_f32_e32 v8, v212, v10
	v_cvt_f64_f32_e32 v[8:9], v8
	v_mul_f64 v[8:9], v[8:9], s[0:1]
	v_cvt_f32_f64_e32 v8, v[8:9]
	v_mul_f32_e32 v9, v213, v10
	v_fma_f32 v9, v212, v11, -v9
	v_cvt_f64_f32_e32 v[10:11], v9
	v_mul_f64 v[10:11], v[10:11], s[0:1]
	v_mad_u64_u32 v[4:5], s[6:7], s4, v251, v[4:5]
	v_cvt_f32_f64_e32 v9, v[10:11]
	v_add_u32_e32 v5, s2, v5
	global_store_dwordx2 v[4:5], v[8:9], off
	v_mul_f32_e32 v8, v211, v1
	v_fmac_f32_e32 v8, v210, v0
	v_mul_f32_e32 v0, v211, v0
	v_fma_f32 v0, v210, v1, -v0
	v_cvt_f64_f32_e32 v[8:9], v8
	v_cvt_f64_f32_e32 v[0:1], v0
	v_mul_f64 v[8:9], v[8:9], s[0:1]
	v_mul_f64 v[0:1], v[0:1], s[0:1]
	v_cvt_f32_f64_e32 v8, v[8:9]
	v_cvt_f32_f64_e32 v9, v[0:1]
	v_mad_u64_u32 v[0:1], s[6:7], s4, v16, v[4:5]
	v_add_u32_e32 v1, s3, v1
	global_store_dwordx2 v[0:1], v[8:9], off
	v_accvgpr_read_b32 v8, a10
	v_accvgpr_read_b32 v9, a11
	v_mul_f32_e32 v4, v9, v15
	v_fmac_f32_e32 v4, v8, v14
	v_cvt_f64_f32_e32 v[4:5], v4
	v_mul_f64 v[4:5], v[4:5], s[0:1]
	v_cvt_f32_f64_e32 v4, v[4:5]
	v_mul_f32_e32 v5, v9, v14
	v_fma_f32 v5, v8, v15, -v5
	v_cvt_f64_f32_e32 v[8:9], v5
	v_mul_f64 v[8:9], v[8:9], s[0:1]
	v_cvt_f32_f64_e32 v5, v[8:9]
	v_mad_u64_u32 v[0:1], s[6:7], s4, v251, v[0:1]
	v_accvgpr_read_b32 v8, a8
	v_add_u32_e32 v1, s2, v1
	v_accvgpr_read_b32 v9, a9
	global_store_dwordx2 v[0:1], v[4:5], off
	v_mul_f32_e32 v4, v9, v3
	v_fmac_f32_e32 v4, v8, v2
	v_mul_f32_e32 v2, v9, v2
	v_fma_f32 v2, v8, v3, -v2
	v_cvt_f64_f32_e32 v[4:5], v4
	v_cvt_f64_f32_e32 v[2:3], v2
	v_mul_f64 v[4:5], v[4:5], s[0:1]
	v_mul_f64 v[2:3], v[2:3], s[0:1]
	v_mad_u64_u32 v[0:1], s[6:7], s4, v251, v[0:1]
	v_cvt_f32_f64_e32 v4, v[4:5]
	v_cvt_f32_f64_e32 v5, v[2:3]
	v_add_u32_e32 v1, s2, v1
	global_store_dwordx2 v[0:1], v[4:5], off
	v_accvgpr_read_b32 v4, a6
	v_accvgpr_read_b32 v5, a7
	v_mul_f32_e32 v2, v5, v7
	v_fmac_f32_e32 v2, v4, v6
	v_cvt_f64_f32_e32 v[2:3], v2
	v_mul_f64 v[2:3], v[2:3], s[0:1]
	v_cvt_f32_f64_e32 v2, v[2:3]
	v_mul_f32_e32 v3, v5, v6
	v_fma_f32 v3, v4, v7, -v3
	v_cvt_f64_f32_e32 v[4:5], v3
	v_mul_f64 v[4:5], v[4:5], s[0:1]
	v_cvt_f32_f64_e32 v3, v[4:5]
	ds_read_b64 v[4:5], v208 offset:24000
	v_mad_u64_u32 v[0:1], s[6:7], s4, v251, v[0:1]
	v_add_u32_e32 v1, s2, v1
	v_accvgpr_read_b32 v7, a5
	global_store_dwordx2 v[0:1], v[2:3], off
	v_accvgpr_read_b32 v6, a4
	s_waitcnt lgkmcnt(0)
	v_mul_f32_e32 v2, v7, v5
	v_fmac_f32_e32 v2, v6, v4
	v_cvt_f64_f32_e32 v[2:3], v2
	v_mul_f64 v[2:3], v[2:3], s[0:1]
	v_cvt_f32_f64_e32 v2, v[2:3]
	v_mul_f32_e32 v3, v7, v4
	v_fma_f32 v3, v6, v5, -v3
	v_cvt_f64_f32_e32 v[4:5], v3
	v_mul_f64 v[4:5], v[4:5], s[0:1]
	v_mad_u64_u32 v[0:1], s[0:1], s4, v251, v[0:1]
	v_cvt_f32_f64_e32 v3, v[4:5]
	v_add_u32_e32 v1, s2, v1
	global_store_dwordx2 v[0:1], v[2:3], off
.LBB0_2:
	s_endpgm
	.section	.rodata,"a",@progbits
	.p2align	6, 0x0
	.amdhsa_kernel bluestein_single_back_len3125_dim1_sp_op_CI_CI
		.amdhsa_group_segment_fixed_size 25000
		.amdhsa_private_segment_fixed_size 0
		.amdhsa_kernarg_size 104
		.amdhsa_user_sgpr_count 2
		.amdhsa_user_sgpr_dispatch_ptr 0
		.amdhsa_user_sgpr_queue_ptr 0
		.amdhsa_user_sgpr_kernarg_segment_ptr 1
		.amdhsa_user_sgpr_dispatch_id 0
		.amdhsa_user_sgpr_kernarg_preload_length 0
		.amdhsa_user_sgpr_kernarg_preload_offset 0
		.amdhsa_user_sgpr_private_segment_size 0
		.amdhsa_uses_dynamic_stack 0
		.amdhsa_enable_private_segment 0
		.amdhsa_system_sgpr_workgroup_id_x 1
		.amdhsa_system_sgpr_workgroup_id_y 0
		.amdhsa_system_sgpr_workgroup_id_z 0
		.amdhsa_system_sgpr_workgroup_info 0
		.amdhsa_system_vgpr_workitem_id 0
		.amdhsa_next_free_vgpr 373
		.amdhsa_next_free_sgpr 17
		.amdhsa_accum_offset 256
		.amdhsa_reserve_vcc 1
		.amdhsa_float_round_mode_32 0
		.amdhsa_float_round_mode_16_64 0
		.amdhsa_float_denorm_mode_32 3
		.amdhsa_float_denorm_mode_16_64 3
		.amdhsa_dx10_clamp 1
		.amdhsa_ieee_mode 1
		.amdhsa_fp16_overflow 0
		.amdhsa_tg_split 0
		.amdhsa_exception_fp_ieee_invalid_op 0
		.amdhsa_exception_fp_denorm_src 0
		.amdhsa_exception_fp_ieee_div_zero 0
		.amdhsa_exception_fp_ieee_overflow 0
		.amdhsa_exception_fp_ieee_underflow 0
		.amdhsa_exception_fp_ieee_inexact 0
		.amdhsa_exception_int_div_zero 0
	.end_amdhsa_kernel
	.text
.Lfunc_end0:
	.size	bluestein_single_back_len3125_dim1_sp_op_CI_CI, .Lfunc_end0-bluestein_single_back_len3125_dim1_sp_op_CI_CI
                                        ; -- End function
	.section	.AMDGPU.csdata,"",@progbits
; Kernel info:
; codeLenInByte = 28888
; NumSgprs: 23
; NumVgprs: 256
; NumAgprs: 117
; TotalNumVgprs: 373
; ScratchSize: 0
; MemoryBound: 0
; FloatMode: 240
; IeeeMode: 1
; LDSByteSize: 25000 bytes/workgroup (compile time only)
; SGPRBlocks: 2
; VGPRBlocks: 46
; NumSGPRsForWavesPerEU: 23
; NumVGPRsForWavesPerEU: 373
; AccumOffset: 256
; Occupancy: 1
; WaveLimiterHint : 1
; COMPUTE_PGM_RSRC2:SCRATCH_EN: 0
; COMPUTE_PGM_RSRC2:USER_SGPR: 2
; COMPUTE_PGM_RSRC2:TRAP_HANDLER: 0
; COMPUTE_PGM_RSRC2:TGID_X_EN: 1
; COMPUTE_PGM_RSRC2:TGID_Y_EN: 0
; COMPUTE_PGM_RSRC2:TGID_Z_EN: 0
; COMPUTE_PGM_RSRC2:TIDIG_COMP_CNT: 0
; COMPUTE_PGM_RSRC3_GFX90A:ACCUM_OFFSET: 63
; COMPUTE_PGM_RSRC3_GFX90A:TG_SPLIT: 0
	.text
	.p2alignl 6, 3212836864
	.fill 256, 4, 3212836864
	.type	__hip_cuid_5909abbe98d12b9d,@object ; @__hip_cuid_5909abbe98d12b9d
	.section	.bss,"aw",@nobits
	.globl	__hip_cuid_5909abbe98d12b9d
__hip_cuid_5909abbe98d12b9d:
	.byte	0                               ; 0x0
	.size	__hip_cuid_5909abbe98d12b9d, 1

	.ident	"AMD clang version 19.0.0git (https://github.com/RadeonOpenCompute/llvm-project roc-6.4.0 25133 c7fe45cf4b819c5991fe208aaa96edf142730f1d)"
	.section	".note.GNU-stack","",@progbits
	.addrsig
	.addrsig_sym __hip_cuid_5909abbe98d12b9d
	.amdgpu_metadata
---
amdhsa.kernels:
  - .agpr_count:     117
    .args:
      - .actual_access:  read_only
        .address_space:  global
        .offset:         0
        .size:           8
        .value_kind:     global_buffer
      - .actual_access:  read_only
        .address_space:  global
        .offset:         8
        .size:           8
        .value_kind:     global_buffer
      - .actual_access:  read_only
        .address_space:  global
        .offset:         16
        .size:           8
        .value_kind:     global_buffer
      - .actual_access:  read_only
        .address_space:  global
        .offset:         24
        .size:           8
        .value_kind:     global_buffer
      - .actual_access:  read_only
        .address_space:  global
        .offset:         32
        .size:           8
        .value_kind:     global_buffer
      - .offset:         40
        .size:           8
        .value_kind:     by_value
      - .address_space:  global
        .offset:         48
        .size:           8
        .value_kind:     global_buffer
      - .address_space:  global
        .offset:         56
        .size:           8
        .value_kind:     global_buffer
      - .address_space:  global
        .offset:         64
        .size:           8
        .value_kind:     global_buffer
      - .address_space:  global
        .offset:         72
        .size:           8
        .value_kind:     global_buffer
      - .offset:         80
        .size:           4
        .value_kind:     by_value
      - .address_space:  global
        .offset:         88
        .size:           8
        .value_kind:     global_buffer
      - .address_space:  global
        .offset:         96
        .size:           8
        .value_kind:     global_buffer
    .group_segment_fixed_size: 25000
    .kernarg_segment_align: 8
    .kernarg_segment_size: 104
    .language:       OpenCL C
    .language_version:
      - 2
      - 0
    .max_flat_workgroup_size: 125
    .name:           bluestein_single_back_len3125_dim1_sp_op_CI_CI
    .private_segment_fixed_size: 0
    .sgpr_count:     23
    .sgpr_spill_count: 0
    .symbol:         bluestein_single_back_len3125_dim1_sp_op_CI_CI.kd
    .uniform_work_group_size: 1
    .uses_dynamic_stack: false
    .vgpr_count:     373
    .vgpr_spill_count: 0
    .wavefront_size: 64
amdhsa.target:   amdgcn-amd-amdhsa--gfx950
amdhsa.version:
  - 1
  - 2
...

	.end_amdgpu_metadata
